;; amdgpu-corpus repo=ROCm/rocFFT kind=compiled arch=gfx950 opt=O3
	.text
	.amdgcn_target "amdgcn-amd-amdhsa--gfx950"
	.amdhsa_code_object_version 6
	.protected	fft_rtc_back_len935_factors_17_11_5_wgs_255_tpt_85_halfLds_sp_ip_CI_unitstride_sbrr_dirReg ; -- Begin function fft_rtc_back_len935_factors_17_11_5_wgs_255_tpt_85_halfLds_sp_ip_CI_unitstride_sbrr_dirReg
	.globl	fft_rtc_back_len935_factors_17_11_5_wgs_255_tpt_85_halfLds_sp_ip_CI_unitstride_sbrr_dirReg
	.p2align	8
	.type	fft_rtc_back_len935_factors_17_11_5_wgs_255_tpt_85_halfLds_sp_ip_CI_unitstride_sbrr_dirReg,@function
fft_rtc_back_len935_factors_17_11_5_wgs_255_tpt_85_halfLds_sp_ip_CI_unitstride_sbrr_dirReg: ; @fft_rtc_back_len935_factors_17_11_5_wgs_255_tpt_85_halfLds_sp_ip_CI_unitstride_sbrr_dirReg
; %bb.0:
	s_load_dwordx2 s[8:9], s[0:1], 0x50
	s_load_dwordx4 s[4:7], s[0:1], 0x0
	s_load_dwordx2 s[10:11], s[0:1], 0x18
	v_mul_u32_u24_e32 v1, 0x304, v0
	v_lshrrev_b32_e32 v2, 16, v1
	v_mad_u64_u32 v[4:5], s[2:3], s2, 3, v[2:3]
	v_mov_b32_e32 v6, 0
	v_mov_b32_e32 v5, v6
	s_waitcnt lgkmcnt(0)
	v_cmp_lt_u64_e64 s[2:3], s[6:7], 2
	s_and_b64 vcc, exec, s[2:3]
	v_mov_b64_e32 v[2:3], 0
	v_mov_b64_e32 v[10:11], v[4:5]
	s_cbranch_vccnz .LBB0_8
; %bb.1:
	s_load_dwordx2 s[2:3], s[0:1], 0x10
	s_add_u32 s12, s10, 8
	s_addc_u32 s13, s11, 0
	s_mov_b64 s[14:15], 1
	v_mov_b64_e32 v[2:3], 0
	s_waitcnt lgkmcnt(0)
	s_add_u32 s16, s2, 8
	s_addc_u32 s17, s3, 0
	v_mov_b64_e32 v[8:9], v[4:5]
.LBB0_2:                                ; =>This Inner Loop Header: Depth=1
	s_load_dwordx2 s[18:19], s[16:17], 0x0
                                        ; implicit-def: $vgpr10_vgpr11
	s_waitcnt lgkmcnt(0)
	v_or_b32_e32 v7, s19, v9
	v_cmp_ne_u64_e32 vcc, 0, v[6:7]
	s_and_saveexec_b64 s[2:3], vcc
	s_xor_b64 s[20:21], exec, s[2:3]
	s_cbranch_execz .LBB0_4
; %bb.3:                                ;   in Loop: Header=BB0_2 Depth=1
	v_cvt_f32_u32_e32 v1, s18
	v_cvt_f32_u32_e32 v5, s19
	s_sub_u32 s2, 0, s18
	s_subb_u32 s3, 0, s19
	v_fmac_f32_e32 v1, 0x4f800000, v5
	v_rcp_f32_e32 v1, v1
	s_nop 0
	v_mul_f32_e32 v1, 0x5f7ffffc, v1
	v_mul_f32_e32 v5, 0x2f800000, v1
	v_trunc_f32_e32 v5, v5
	v_fmac_f32_e32 v1, 0xcf800000, v5
	v_cvt_u32_f32_e32 v5, v5
	v_cvt_u32_f32_e32 v1, v1
	v_mul_lo_u32 v7, s2, v5
	v_mul_hi_u32 v10, s2, v1
	v_mul_lo_u32 v11, s3, v1
	v_add_u32_e32 v7, v10, v7
	v_mul_lo_u32 v14, s2, v1
	v_add_u32_e32 v7, v7, v11
	v_mul_hi_u32 v10, v1, v14
	v_mul_hi_u32 v13, v1, v7
	v_mul_lo_u32 v12, v1, v7
	v_mov_b32_e32 v11, v6
	v_lshl_add_u64 v[10:11], v[10:11], 0, v[12:13]
	v_mul_hi_u32 v13, v5, v14
	v_mul_lo_u32 v14, v5, v14
	v_add_co_u32_e32 v10, vcc, v10, v14
	v_mul_hi_u32 v12, v5, v7
	s_nop 0
	v_addc_co_u32_e32 v10, vcc, v11, v13, vcc
	v_mov_b32_e32 v11, v6
	s_nop 0
	v_addc_co_u32_e32 v13, vcc, 0, v12, vcc
	v_mul_lo_u32 v12, v5, v7
	v_lshl_add_u64 v[10:11], v[10:11], 0, v[12:13]
	v_add_co_u32_e32 v1, vcc, v1, v10
	v_mul_hi_u32 v10, s2, v1
	s_nop 0
	v_addc_co_u32_e32 v5, vcc, v5, v11, vcc
	v_mul_lo_u32 v7, s2, v5
	v_add_u32_e32 v7, v10, v7
	v_mul_lo_u32 v10, s3, v1
	v_add_u32_e32 v7, v7, v10
	v_mul_lo_u32 v12, s2, v1
	v_mul_hi_u32 v15, v5, v12
	v_mul_lo_u32 v16, v5, v12
	v_mul_hi_u32 v11, v1, v7
	;; [unrolled: 2-line block ×3, first 2 shown]
	v_mov_b32_e32 v13, v6
	v_lshl_add_u64 v[10:11], v[12:13], 0, v[10:11]
	v_add_co_u32_e32 v10, vcc, v10, v16
	v_mul_hi_u32 v14, v5, v7
	s_nop 0
	v_addc_co_u32_e32 v10, vcc, v11, v15, vcc
	v_mul_lo_u32 v12, v5, v7
	s_nop 0
	v_addc_co_u32_e32 v13, vcc, 0, v14, vcc
	v_mov_b32_e32 v11, v6
	v_lshl_add_u64 v[10:11], v[10:11], 0, v[12:13]
	v_add_co_u32_e32 v1, vcc, v1, v10
	v_mul_hi_u32 v12, v8, v1
	s_nop 0
	v_addc_co_u32_e32 v5, vcc, v5, v11, vcc
	v_mad_u64_u32 v[10:11], s[2:3], v8, v5, 0
	v_mov_b32_e32 v13, v6
	v_lshl_add_u64 v[10:11], v[12:13], 0, v[10:11]
	v_mad_u64_u32 v[14:15], s[2:3], v9, v1, 0
	v_add_co_u32_e32 v1, vcc, v10, v14
	v_mad_u64_u32 v[12:13], s[2:3], v9, v5, 0
	s_nop 0
	v_addc_co_u32_e32 v10, vcc, v11, v15, vcc
	v_mov_b32_e32 v11, v6
	s_nop 0
	v_addc_co_u32_e32 v13, vcc, 0, v13, vcc
	v_lshl_add_u64 v[10:11], v[10:11], 0, v[12:13]
	v_mul_lo_u32 v1, s19, v10
	v_mul_lo_u32 v5, s18, v11
	v_mad_u64_u32 v[12:13], s[2:3], s18, v10, 0
	v_add3_u32 v1, v13, v5, v1
	v_sub_u32_e32 v5, v9, v1
	v_mov_b32_e32 v7, s19
	v_sub_co_u32_e32 v16, vcc, v8, v12
	v_lshl_add_u64 v[14:15], v[10:11], 0, 1
	s_nop 0
	v_subb_co_u32_e64 v5, s[2:3], v5, v7, vcc
	v_subrev_co_u32_e64 v7, s[2:3], s18, v16
	v_subb_co_u32_e32 v1, vcc, v9, v1, vcc
	s_nop 0
	v_subbrev_co_u32_e64 v5, s[2:3], 0, v5, s[2:3]
	v_cmp_le_u32_e64 s[2:3], s19, v5
	v_cmp_le_u32_e32 vcc, s19, v1
	s_nop 0
	v_cndmask_b32_e64 v12, 0, -1, s[2:3]
	v_cmp_le_u32_e64 s[2:3], s18, v7
	s_nop 1
	v_cndmask_b32_e64 v7, 0, -1, s[2:3]
	v_cmp_eq_u32_e64 s[2:3], s19, v5
	s_nop 1
	v_cndmask_b32_e64 v5, v12, v7, s[2:3]
	v_lshl_add_u64 v[12:13], v[10:11], 0, 2
	v_cmp_ne_u32_e64 s[2:3], 0, v5
	v_cndmask_b32_e64 v7, 0, -1, vcc
	v_cmp_le_u32_e32 vcc, s18, v16
	v_cndmask_b32_e64 v5, v15, v13, s[2:3]
	s_nop 0
	v_cndmask_b32_e64 v13, 0, -1, vcc
	v_cmp_eq_u32_e32 vcc, s19, v1
	s_nop 1
	v_cndmask_b32_e32 v1, v7, v13, vcc
	v_cmp_ne_u32_e32 vcc, 0, v1
	v_cndmask_b32_e64 v1, v14, v12, s[2:3]
	s_nop 0
	v_cndmask_b32_e32 v11, v11, v5, vcc
	v_cndmask_b32_e32 v10, v10, v1, vcc
.LBB0_4:                                ;   in Loop: Header=BB0_2 Depth=1
	s_andn2_saveexec_b64 s[2:3], s[20:21]
	s_cbranch_execz .LBB0_6
; %bb.5:                                ;   in Loop: Header=BB0_2 Depth=1
	v_cvt_f32_u32_e32 v1, s18
	s_sub_i32 s20, 0, s18
	v_mov_b32_e32 v11, v6
	v_rcp_iflag_f32_e32 v1, v1
	s_nop 0
	v_mul_f32_e32 v1, 0x4f7ffffe, v1
	v_cvt_u32_f32_e32 v1, v1
	v_mul_lo_u32 v5, s20, v1
	v_mul_hi_u32 v5, v1, v5
	v_add_u32_e32 v1, v1, v5
	v_mul_hi_u32 v1, v8, v1
	v_mul_lo_u32 v5, v1, s18
	v_sub_u32_e32 v5, v8, v5
	v_add_u32_e32 v7, 1, v1
	v_subrev_u32_e32 v10, s18, v5
	v_cmp_le_u32_e32 vcc, s18, v5
	s_nop 1
	v_cndmask_b32_e32 v5, v5, v10, vcc
	v_cndmask_b32_e32 v1, v1, v7, vcc
	v_add_u32_e32 v7, 1, v1
	v_cmp_le_u32_e32 vcc, s18, v5
	s_nop 1
	v_cndmask_b32_e32 v10, v1, v7, vcc
.LBB0_6:                                ;   in Loop: Header=BB0_2 Depth=1
	s_or_b64 exec, exec, s[2:3]
	v_mad_u64_u32 v[12:13], s[2:3], v10, s18, 0
	s_load_dwordx2 s[2:3], s[12:13], 0x0
	s_add_u32 s14, s14, 1
	v_mul_lo_u32 v1, v11, s18
	v_mul_lo_u32 v5, v10, s19
	s_addc_u32 s15, s15, 0
	v_add3_u32 v1, v13, v5, v1
	v_sub_co_u32_e32 v5, vcc, v8, v12
	s_add_u32 s12, s12, 8
	s_nop 0
	v_subb_co_u32_e32 v1, vcc, v9, v1, vcc
	s_addc_u32 s13, s13, 0
	v_mov_b64_e32 v[8:9], s[6:7]
	s_waitcnt lgkmcnt(0)
	v_mul_lo_u32 v1, s2, v1
	v_mul_lo_u32 v7, s3, v5
	v_mad_u64_u32 v[2:3], s[2:3], s2, v5, v[2:3]
	s_add_u32 s16, s16, 8
	v_cmp_ge_u64_e32 vcc, s[14:15], v[8:9]
	v_add3_u32 v3, v7, v3, v1
	s_addc_u32 s17, s17, 0
	s_cbranch_vccnz .LBB0_8
; %bb.7:                                ;   in Loop: Header=BB0_2 Depth=1
	v_mov_b64_e32 v[8:9], v[10:11]
	s_branch .LBB0_2
.LBB0_8:
	s_lshl_b64 s[2:3], s[6:7], 3
	s_add_u32 s2, s10, s2
	s_addc_u32 s3, s11, s3
	s_load_dwordx2 s[6:7], s[2:3], 0x0
	s_load_dwordx2 s[10:11], s[0:1], 0x20
	v_mov_b32_e32 v27, 0
	v_mov_b32_e32 v45, 0
                                        ; implicit-def: $vgpr8
                                        ; implicit-def: $vgpr46
                                        ; implicit-def: $vgpr48
                                        ; implicit-def: $vgpr50
                                        ; implicit-def: $vgpr52
                                        ; implicit-def: $vgpr32
                                        ; implicit-def: $vgpr54
                                        ; implicit-def: $vgpr12
                                        ; implicit-def: $vgpr14
                                        ; implicit-def: $vgpr16
                                        ; implicit-def: $vgpr18
                                        ; implicit-def: $vgpr20
                                        ; implicit-def: $vgpr22
                                        ; implicit-def: $vgpr24
	s_waitcnt lgkmcnt(0)
	v_mad_u64_u32 v[2:3], s[0:1], s6, v10, v[2:3]
	v_mul_lo_u32 v1, s6, v11
	v_mul_lo_u32 v5, s7, v10
	s_mov_b32 s0, 0x3030304
	v_add3_u32 v3, v5, v3, v1
	v_mul_hi_u32 v1, v0, s0
	v_mul_u32_u24_e32 v1, 0x55, v1
	v_sub_u32_e32 v0, v0, v1
	v_cmp_gt_u64_e32 vcc, s[10:11], v[10:11]
	v_cmp_gt_u32_e64 s[0:1], 55, v0
	s_and_b64 s[2:3], vcc, s[0:1]
	v_lshl_add_u64 v[2:3], v[2:3], 3, s[8:9]
                                        ; implicit-def: $vgpr10
	s_and_saveexec_b64 s[6:7], s[2:3]
	s_cbranch_execz .LBB0_10
; %bb.9:
	v_mov_b32_e32 v1, 0
	v_lshl_add_u64 v[6:7], v[0:1], 3, v[2:3]
	s_movk_i32 s2, 0x1000
	v_add_co_u32_e64 v26, s[2:3], s2, v6
	global_load_dwordx2 v[28:29], v[6:7], off
	global_load_dwordx2 v[8:9], v[6:7], off offset:440
	global_load_dwordx2 v[10:11], v[6:7], off offset:880
	;; [unrolled: 1-line block ×7, first 2 shown]
	v_addc_co_u32_e64 v27, s[2:3], 0, v7, s[2:3]
	global_load_dwordx2 v[54:55], v[6:7], off offset:3520
	global_load_dwordx2 v[44:45], v[6:7], off offset:3960
	;; [unrolled: 1-line block ×9, first 2 shown]
	s_waitcnt vmcnt(16)
	v_mov_b32_e32 v27, v29
	s_waitcnt vmcnt(7)
	v_mov_b32_e32 v26, v45
	v_mov_b32_e32 v45, v28
.LBB0_10:
	s_or_b64 exec, exec, s[6:7]
	s_mov_b32 s2, 0xaaaaaaab
	v_mul_hi_u32 v1, v4, s2
	v_lshrrev_b32_e32 v1, 1, v1
	s_mov_b32 s2, 0x3f65296c
	v_lshl_add_u32 v1, v1, 1, v1
	s_waitcnt vmcnt(0)
	v_pk_add_f32 v[36:37], v[8:9], v[12:13] neg_lo:[0,1] neg_hi:[0,1]
	s_mov_b32 s30, 0x3dbcf732
	s_mov_b32 s6, 0x3f7ee86f
	;; [unrolled: 1-line block ×4, first 2 shown]
	v_sub_u32_e32 v1, v4, v1
	v_pk_add_f32 v[70:71], v[8:9], v[12:13]
	v_pk_add_f32 v[34:35], v[10:11], v[14:15] neg_lo:[0,1] neg_hi:[0,1]
	s_mov_b32 s31, 0x3ee437d1
	v_pk_mul_f32 v[4:5], v[36:37], s[6:7] op_sel:[1,0]
	s_mov_b32 s36, 0xbf7ba420
	s_mov_b32 s17, 0x3f4c4adb
	;; [unrolled: 1-line block ×3, first 2 shown]
	v_pk_add_f32 v[62:63], v[10:11], v[14:15]
	v_pk_fma_f32 v[4:5], v[70:71], s[30:31], v[4:5] op_sel_hi:[0,1,1]
	v_mov_b32_e32 v6, v45
	s_mov_b32 s37, 0xbf1a4643
	v_pk_mul_f32 v[38:39], v[34:35], s[16:17] op_sel:[1,0]
	s_mov_b32 s7, 0xbe3c28d5
	s_mov_b32 s21, 0xbf763a35
	v_pk_add_f32 v[30:31], v[46:47], v[16:17] neg_lo:[0,1] neg_hi:[0,1]
	v_pk_add_f32 v[4:5], v[6:7], v[4:5] op_sel_hi:[0,1]
	v_pk_fma_f32 v[38:39], v[62:63], s[36:37], v[38:39] op_sel_hi:[0,1,1]
	s_mov_b32 s8, s21
	s_mov_b32 s9, s7
	v_pk_add_f32 v[60:61], v[46:47], v[16:17]
	v_pk_add_f32 v[4:5], v[4:5], v[38:39]
	s_mov_b32 s38, 0xbe8c1d8e
	s_mov_b32 s39, s36
	v_pk_mul_f32 v[38:39], v[30:31], s[8:9] op_sel:[1,0]
	v_pk_add_f32 v[28:29], v[48:49], v[18:19] neg_lo:[0,1] neg_hi:[0,1]
	v_pk_fma_f32 v[38:39], v[60:61], s[38:39], v[38:39] op_sel_hi:[0,1,1]
	s_mov_b32 s24, 0xbeb8f4ab
	s_mov_b32 s25, s21
	v_pk_add_f32 v[58:59], v[48:49], v[18:19]
	v_pk_add_f32 v[4:5], v[4:5], v[38:39]
	s_mov_b32 s42, 0x3f6eb680
	s_mov_b32 s43, s38
	v_pk_mul_f32 v[38:39], v[28:29], s[24:25] op_sel:[1,0]
	s_mov_b32 s26, 0xbf2c7751
	v_pk_fma_f32 v[38:39], v[58:59], s[42:43], v[38:39] op_sel_hi:[0,1,1]
	v_pk_add_f32 v[4:5], v[4:5], v[38:39]
	v_pk_add_f32 v[38:39], v[50:51], v[20:21] neg_lo:[0,1] neg_hi:[0,1]
	s_mov_b32 s3, s26
	v_pk_add_f32 v[56:57], v[50:51], v[20:21]
	s_mov_b32 s45, 0x3f3d2fb0
	s_mov_b32 s44, s31
	v_pk_mul_f32 v[40:41], v[38:39], s[2:3] op_sel:[1,0]
	s_mov_b32 s40, 0x3f763a35
	v_pk_fma_f32 v[40:41], v[56:57], s[44:45], v[40:41] op_sel_hi:[0,1,1]
	s_mov_b32 s41, 0x3f06c442
	v_pk_add_f32 v[4:5], v[4:5], v[40:41]
	s_mov_b32 s53, 0x3eb8f4ab
	s_mov_b32 s52, s41
	v_pk_add_f32 v[40:41], v[52:53], v[22:23] neg_lo:[0,1] neg_hi:[0,1]
	s_mov_b32 s46, 0xbf59a7d5
	s_mov_b32 s47, s42
	v_pk_add_f32 v[66:67], v[52:53], v[22:23]
	v_pk_mul_f32 v[42:43], v[40:41], s[52:53] op_sel:[1,0]
	s_mov_b32 s8, s20
	v_pk_fma_f32 v[42:43], v[66:67], s[46:47], v[42:43] op_sel_hi:[0,1,1]
	v_pk_add_f32 v[4:5], v[4:5], v[42:43]
	s_mov_b32 s9, s6
	v_pk_add_f32 v[42:43], v[32:33], v[24:25] neg_lo:[0,1] neg_hi:[0,1]
	s_mov_b32 s48, s37
	s_mov_b32 s49, s30
	v_pk_add_f32 v[64:65], v[32:33], v[24:25]
	v_pk_mul_f32 v[68:69], v[42:43], s[8:9] op_sel:[1,0]
	s_mov_b32 s27, s41
	v_pk_fma_f32 v[68:69], v[64:65], s[48:49], v[68:69] op_sel_hi:[0,1,1]
	v_pk_add_f32 v[4:5], v[4:5], v[68:69]
	v_mov_b32_e32 v68, v55
	v_pk_add_f32 v[72:73], v[68:69], v[26:27] op_sel_hi:[0,1] neg_lo:[0,1] neg_hi:[0,1]
	s_mov_b32 s50, s45
	s_mov_b32 s51, s46
	v_pk_add_f32 v[76:77], v[54:55], v[44:45]
	v_pk_mul_f32 v[68:69], v[72:73], s[26:27] op_sel_hi:[0,1]
	v_pk_fma_f32 v[68:69], v[76:77], s[50:51], v[68:69] op_sel_hi:[0,1,1]
	s_mov_b32 s8, s37
	s_mov_b32 s9, s38
	v_pk_mul_f32 v[92:93], v[36:37], s[20:21] op_sel:[1,0]
	v_pk_add_f32 v[4:5], v[4:5], v[68:69]
	v_pk_fma_f32 v[68:69], v[70:71], s[8:9], v[92:93] op_sel_hi:[0,1,1] neg_lo:[0,0,1] neg_hi:[0,0,1]
	s_mov_b32 s10, s38
	s_mov_b32 s11, s46
	v_pk_mul_f32 v[74:75], v[34:35], s[40:41] op_sel:[1,0]
	s_mov_b32 s25, 0x3f2c7751
	s_mov_b32 s54, 0xbf06c442
	v_pk_add_f32 v[6:7], v[6:7], v[68:69] op_sel_hi:[0,1]
	v_pk_fma_f32 v[68:69], v[62:63], s[10:11], v[74:75] op_sel_hi:[0,1,1] neg_lo:[0,0,1] neg_hi:[0,0,1]
	s_mov_b32 s12, s42
	s_mov_b32 s13, s45
	v_pk_mul_f32 v[78:79], v[30:31], s[24:25] op_sel:[1,0]
	s_mov_b32 s55, 0xbf65296c
	v_pk_add_f32 v[6:7], v[6:7], v[68:69]
	v_pk_fma_f32 v[68:69], v[60:61], s[12:13], v[78:79] op_sel_hi:[0,1,1] neg_lo:[0,0,1] neg_hi:[0,0,1]
	s_mov_b32 s14, s46
	s_mov_b32 s15, s31
	v_pk_mul_f32 v[80:81], v[28:29], s[54:55] op_sel:[1,0]
	v_pk_add_f32 v[6:7], v[6:7], v[68:69]
	v_pk_fma_f32 v[68:69], v[58:59], s[14:15], v[80:81] op_sel_hi:[0,1,1] neg_lo:[0,0,1] neg_hi:[0,0,1]
	s_mov_b32 s18, s30
	s_mov_b32 s19, s36
	v_pk_mul_f32 v[82:83], v[38:39], s[6:7] op_sel:[1,0]
	s_mov_b32 s27, s6
	v_pk_add_f32 v[6:7], v[6:7], v[68:69]
	v_pk_fma_f32 v[68:69], v[56:57], s[18:19], v[82:83] op_sel_hi:[0,1,1] neg_lo:[0,0,1] neg_hi:[0,0,1]
	s_mov_b32 s22, s45
	s_mov_b32 s23, s30
	v_pk_mul_f32 v[84:85], v[40:41], s[26:27] op_sel:[1,0]
	s_mov_b32 s56, s7
	s_mov_b32 s57, s24
	v_pk_add_f32 v[6:7], v[6:7], v[68:69]
	v_pk_fma_f32 v[68:69], v[66:67], s[22:23], v[84:85] op_sel_hi:[0,1,1] neg_lo:[0,0,1] neg_hi:[0,0,1]
	s_mov_b32 s28, s36
	s_mov_b32 s29, s42
	v_pk_mul_f32 v[86:87], v[42:43], s[56:57] op_sel:[1,0]
	s_mov_b32 s3, s20
	v_pk_add_f32 v[6:7], v[6:7], v[68:69]
	v_pk_fma_f32 v[68:69], v[64:65], s[28:29], v[86:87] op_sel_hi:[0,1,1] neg_lo:[0,0,1] neg_hi:[0,0,1]
	s_mov_b32 s34, s31
	s_mov_b32 s35, s37
	v_pk_mul_f32 v[90:91], v[72:73], s[2:3] op_sel_hi:[0,1]
	v_pk_add_f32 v[6:7], v[6:7], v[68:69]
	v_pk_fma_f32 v[68:69], v[76:77], s[34:35], v[90:91] op_sel_hi:[0,1,1] neg_lo:[0,0,1] neg_hi:[0,0,1]
	v_mul_u32_u24_e32 v1, 0x3a7, v1
	v_pk_add_f32 v[6:7], v[6:7], v[68:69]
	v_mov_b32_e32 v68, v55
	v_mov_b32_e32 v69, v55
	v_lshlrev_b32_e32 v1, 2, v1
	s_and_saveexec_b64 s[58:59], s[0:1]
	s_cbranch_execz .LBB0_12
; %bb.11:
	v_mov_b32_e32 v94, v45
	v_pk_add_f32 v[94:95], v[94:95], v[8:9]
	v_mov_b32_e32 v88, v70
	v_pk_add_f32 v[94:95], v[94:95], v[10:11]
	v_mov_b32_e32 v89, v70
	v_pk_add_f32 v[94:95], v[94:95], v[46:47]
	v_mov_b32_e32 v122, v37
	v_pk_add_f32 v[94:95], v[94:95], v[48:49]
	v_mov_b32_e32 v123, v37
	v_pk_add_f32 v[94:95], v[94:95], v[50:51]
	s_mov_b32 s60, s45
	s_mov_b32 s61, s42
	;; [unrolled: 1-line block ×4, first 2 shown]
	v_pk_add_f32 v[94:95], v[94:95], v[52:53]
	v_pk_mul_f32 v[98:99], v[88:89], s[60:61]
	v_pk_add_f32 v[96:97], v[94:95], v[32:33]
	v_pk_mul_f32 v[94:95], v[122:123], s[62:63]
	v_mov_b32_e32 v98, v54
	v_mov_b32_e32 v97, v95
	;; [unrolled: 1-line block ×4, first 2 shown]
	s_mov_b32 s76, 0xbf7ee86f
	s_mov_b32 s77, s26
	v_pk_add_f32 v[96:97], v[96:97], v[98:99]
	v_mov_b32_e32 v98, v62
	v_mov_b32_e32 v99, v62
	s_mov_b32 s64, s30
	s_mov_b32 s65, s45
	v_pk_mul_f32 v[104:105], v[128:129], s[76:77]
	v_pk_add_f32 v[96:97], v[96:97], v[44:45]
	v_pk_fma_f32 v[100:101], v[98:99], s[64:65], v[104:105]
	v_mov_b32_e32 v130, v31
	v_mov_b32_e32 v100, v24
	;; [unrolled: 1-line block ×3, first 2 shown]
	s_mov_b32 s66, s20
	s_mov_b32 s67, s55
	v_pk_add_f32 v[102:103], v[100:101], v[96:97]
	v_mov_b32_e32 v96, v60
	v_mov_b32_e32 v97, v60
	s_mov_b32 s62, s37
	s_mov_b32 s63, s31
	v_pk_mul_f32 v[100:101], v[130:131], s[66:67]
	v_mov_b32_e32 v132, v29
	v_pk_fma_f32 v[106:107], v[96:97], s[62:63], v[100:101]
	v_mov_b32_e32 v133, v29
	v_mov_b32_e32 v106, v22
	s_mov_b32 s68, s7
	s_mov_b32 s69, s76
	v_pk_add_f32 v[108:109], v[106:107], v[102:103]
	v_mov_b32_e32 v102, v58
	v_mov_b32_e32 v103, v58
	s_mov_b32 s66, s36
	s_mov_b32 s67, s30
	v_pk_mul_f32 v[106:107], v[132:133], s[68:69]
	v_mov_b32_e32 v134, v39
	v_pk_fma_f32 v[110:111], v[102:103], s[66:67], v[106:107]
	v_mov_b32_e32 v135, v39
	v_mov_b32_e32 v110, v20
	;; [unrolled: 12-line block ×4, first 2 shown]
	s_mov_b32 s74, s2
	s_mov_b32 s75, s54
	v_pk_add_f32 v[120:121], v[118:119], v[116:117]
	v_mov_b32_e32 v116, v64
	v_mov_b32_e32 v117, v64
	s_mov_b32 s72, s31
	s_mov_b32 s73, s46
	v_pk_mul_f32 v[118:119], v[138:139], s[74:75]
	v_mov_b32_e32 v73, v72
	v_pk_fma_f32 v[124:125], v[116:117], s[72:73], v[118:119]
	s_mov_b32 s78, s53
	v_mov_b32_e32 v124, v14
	s_mov_b32 s79, s7
	v_pk_add_f32 v[126:127], v[124:125], v[120:121]
	v_mov_b32_e32 v120, v76
	v_mov_b32_e32 v121, v76
	s_mov_b32 s74, s42
	s_mov_b32 s75, s36
	v_pk_mul_f32 v[124:125], v[72:73], s[78:79]
	s_mov_b32 s80, s45
	v_pk_fma_f32 v[140:141], v[120:121], s[74:75], v[124:125]
	s_mov_b32 s81, s31
	v_mov_b32_e32 v140, v12
	v_pk_add_f32 v[126:127], v[140:141], v[126:127]
	v_mul_u32_u24_e32 v12, 0x44, v0
	s_mov_b32 s78, s26
	s_mov_b32 s79, s55
	v_pk_mul_f32 v[140:141], v[88:89], s[80:81]
	v_add3_u32 v16, 0, v12, v1
	v_pk_fma_f32 v[140:141], v[122:123], s[78:79], v[140:141]
	s_mov_b32 s78, s30
	s_mov_b32 s79, s37
	ds_write2_b32 v16, v126, v127 offset1:1
	v_mov_b32_e32 v126, v45
	v_mov_b32_e32 v127, v45
	s_mov_b32 s77, s20
	v_pk_mul_f32 v[142:143], v[98:99], s[78:79]
	v_pk_add_f32 v[140:141], v[126:127], v[140:141]
	v_pk_fma_f32 v[142:143], v[128:129], s[76:77], v[142:143]
	s_mov_b32 s80, s37
	s_mov_b32 s81, s36
	v_pk_add_f32 v[140:141], v[140:141], v[142:143]
	s_mov_b32 s78, s20
	s_mov_b32 s79, s16
	v_pk_mul_f32 v[142:143], v[96:97], s[80:81]
	s_mov_b32 s80, s36
	v_pk_fma_f32 v[142:143], v[130:131], s[78:79], v[142:143]
	s_mov_b32 s81, s38
	v_pk_add_f32 v[140:141], v[140:141], v[142:143]
	s_mov_b32 s78, s7
	s_mov_b32 s79, s40
	v_pk_mul_f32 v[142:143], v[102:103], s[80:81]
	s_mov_b32 s80, s46
	v_pk_fma_f32 v[142:143], v[132:133], s[78:79], v[142:143]
	;; [unrolled: 7-line block ×6, first 2 shown]
	s_mov_b32 s78, s30
	v_pk_add_f32 v[140:141], v[140:141], v[142:143]
	s_mov_b32 s79, s38
	ds_write2_b32 v16, v140, v141 offset0:2 offset1:3
	v_pk_mul_f32 v[140:141], v[88:89], s[78:79]
	s_mov_b32 s78, s36
	s_mov_b32 s79, s46
	v_pk_fma_f32 v[122:123], v[122:123], s[76:77], v[140:141]
	s_mov_b32 s76, s7
	s_mov_b32 s77, s41
	v_pk_mul_f32 v[140:141], v[98:99], s[78:79]
	v_pk_add_f32 v[122:123], v[126:127], v[122:123]
	v_pk_fma_f32 v[128:129], v[128:129], s[76:77], v[140:141]
	s_mov_b32 s78, s38
	s_mov_b32 s79, s45
	v_pk_add_f32 v[122:123], v[122:123], v[128:129]
	s_mov_b32 s76, s40
	s_mov_b32 s77, s25
	v_pk_mul_f32 v[128:129], v[96:97], s[78:79]
	s_mov_b32 s78, s42
	v_pk_fma_f32 v[128:129], v[130:131], s[76:77], v[128:129]
	s_mov_b32 s79, s31
	v_pk_add_f32 v[122:123], v[122:123], v[128:129]
	s_mov_b32 s76, s53
	s_mov_b32 s77, s55
	v_pk_mul_f32 v[128:129], v[102:103], s[78:79]
	s_mov_b32 s78, s31
	v_pk_fma_f32 v[128:129], v[132:133], s[76:77], v[128:129]
	;; [unrolled: 7-line block ×5, first 2 shown]
	s_mov_b32 s79, s37
	v_pk_add_f32 v[122:123], v[122:123], v[128:129]
	s_mov_b32 s76, s25
	s_mov_b32 s77, s20
	v_pk_mul_f32 v[128:129], v[120:121], s[78:79]
	v_mul_f32_e32 v93, 0xbf06c442, v37
	v_pk_fma_f32 v[128:129], v[72:73], s[76:77], v[128:129]
	v_mul_f32_e32 v75, 0x3f65296c, v35
	v_pk_add_f32 v[122:123], v[122:123], v[128:129]
	ds_write2_b32 v16, v122, v123 offset0:4 offset1:5
	v_pk_mul_f32 v[122:123], v[70:71], s[8:9] op_sel_hi:[0,1]
	v_mul_f32_e32 v123, 0xbf59a7d5, v70
	v_pk_mul_f32 v[128:129], v[62:63], s[10:11] op_sel_hi:[0,1]
	v_mul_f32_e32 v129, 0x3ee437d1, v62
	v_pk_add_f32 v[122:123], v[92:93], v[122:123]
	v_pk_add_f32 v[128:129], v[74:75], v[128:129]
	v_pk_add_f32 v[122:123], v[126:127], v[122:123]
	v_mul_f32_e32 v79, 0xbf7ee86f, v31
	v_pk_add_f32 v[122:123], v[122:123], v[128:129]
	v_pk_mul_f32 v[128:129], v[60:61], s[12:13] op_sel_hi:[0,1]
	v_mul_f32_e32 v129, 0x3dbcf732, v60
	v_pk_add_f32 v[128:129], v[78:79], v[128:129]
	v_mul_f32_e32 v81, 0x3f4c4adb, v29
	v_pk_add_f32 v[122:123], v[122:123], v[128:129]
	v_pk_mul_f32 v[128:129], v[58:59], s[14:15] op_sel_hi:[0,1]
	v_mul_f32_e32 v129, 0xbf1a4643, v58
	v_pk_add_f32 v[128:129], v[80:81], v[128:129]
	;; [unrolled: 5-line block ×6, first 2 shown]
	v_mul_f32_e32 v12, 0xbf7ba420, v70
	v_mul_f32_e32 v14, 0xbe3c28d5, v37
	v_pk_add_f32 v[122:123], v[122:123], v[128:129]
	v_fma_f32 v18, v70, s46, -v93
	v_pk_add_f32 v[70:71], v[12:13], v[14:15]
	v_pk_add_f32 v[92:93], v[12:13], v[14:15] neg_lo:[0,1] neg_hi:[0,1]
	v_mul_f32_e32 v12, 0x3f6eb680, v62
	v_mul_f32_e32 v14, 0x3eb8f4ab, v35
	ds_write2_b32 v16, v122, v123 offset0:6 offset1:7
	v_mov_b32_e32 v71, v92
	v_pk_add_f32 v[92:93], v[12:13], v[14:15]
	v_pk_add_f32 v[122:123], v[12:13], v[14:15] neg_lo:[0,1] neg_hi:[0,1]
	v_pk_add_f32 v[70:71], v[126:127], v[70:71]
	v_mov_b32_e32 v93, v122
	v_mul_f32_e32 v12, 0xbf59a7d5, v60
	v_mul_f32_e32 v14, 0xbf06c442, v31
	v_pk_add_f32 v[70:71], v[70:71], v[92:93]
	v_pk_add_f32 v[92:93], v[12:13], v[14:15]
	v_pk_add_f32 v[122:123], v[12:13], v[14:15] neg_lo:[0,1] neg_hi:[0,1]
	v_mul_f32_e32 v12, 0x3f3d2fb0, v58
	v_mov_b32_e32 v93, v122
	v_mul_f32_e32 v14, 0x3f2c7751, v29
	v_pk_add_f32 v[70:71], v[70:71], v[92:93]
	v_pk_add_f32 v[92:93], v[12:13], v[14:15]
	v_pk_add_f32 v[122:123], v[12:13], v[14:15] neg_lo:[0,1] neg_hi:[0,1]
	v_mul_f32_e32 v12, 0xbf1a4643, v56
	v_mov_b32_e32 v93, v122
	;; [unrolled: 6-line block ×4, first 2 shown]
	v_mul_f32_e32 v14, 0xbf763a35, v43
	v_pk_add_f32 v[70:71], v[70:71], v[92:93]
	v_pk_add_f32 v[92:93], v[12:13], v[14:15]
	v_pk_add_f32 v[122:123], v[12:13], v[14:15] neg_lo:[0,1] neg_hi:[0,1]
	v_mul_f32_e32 v12, 0x3dbcf732, v76
	v_mul_f32_e32 v14, 0x3f7ee86f, v72
	v_mov_b32_e32 v93, v122
	v_fma_f32 v20, v76, s38, -v91
	v_pk_add_f32 v[72:73], v[12:13], v[14:15]
	v_pk_add_f32 v[76:77], v[12:13], v[14:15] neg_lo:[0,1] neg_hi:[0,1]
	v_pk_add_f32 v[70:71], v[70:71], v[92:93]
	v_mov_b32_e32 v73, v76
	v_pk_add_f32 v[70:71], v[70:71], v[72:73]
	ds_write2_b32 v16, v70, v71 offset0:8 offset1:9
	v_pk_fma_f32 v[70:71], v[88:89], s[60:61], v[94:95] neg_lo:[0,0,1] neg_hi:[0,0,1]
	v_pk_fma_f32 v[72:73], v[98:99], s[64:65], v[104:105] neg_lo:[0,0,1] neg_hi:[0,0,1]
	v_pk_add_f32 v[70:71], v[126:127], v[70:71]
	v_fma_f32 v12, v62, s31, -v75
	v_add_f32_e32 v14, v45, v18
	v_pk_add_f32 v[70:71], v[70:71], v[72:73]
	v_add_f32_e32 v12, v14, v12
	v_fma_f32 v14, v60, s30, -v79
	v_pk_fma_f32 v[72:73], v[96:97], s[62:63], v[100:101] neg_lo:[0,0,1] neg_hi:[0,0,1]
	v_add_f32_e32 v12, v12, v14
	v_fma_f32 v14, v58, s37, -v81
	v_pk_add_f32 v[70:71], v[70:71], v[72:73]
	v_pk_fma_f32 v[72:73], v[102:103], s[66:67], v[106:107] neg_lo:[0,0,1] neg_hi:[0,0,1]
	v_add_f32_e32 v12, v12, v14
	v_fma_f32 v14, v56, s42, -v83
	v_pk_add_f32 v[70:71], v[70:71], v[72:73]
	;; [unrolled: 4-line block ×4, first 2 shown]
	v_pk_fma_f32 v[72:73], v[116:117], s[72:73], v[118:119] neg_lo:[0,0,1] neg_hi:[0,0,1]
	v_add_f32_e32 v12, v12, v14
	v_pk_add_f32 v[70:71], v[70:71], v[72:73]
	v_pk_fma_f32 v[72:73], v[120:121], s[74:75], v[124:125] neg_lo:[0,0,1] neg_hi:[0,0,1]
	v_add_f32_e32 v12, v12, v20
	v_pk_add_f32 v[70:71], v[70:71], v[72:73]
	ds_write_b32 v16, v12 offset:40
	ds_write2_b32 v16, v6, v7 offset0:11 offset1:12
	ds_write2_b32 v16, v4, v5 offset0:13 offset1:14
	;; [unrolled: 1-line block ×3, first 2 shown]
.LBB0_12:
	s_or_b64 exec, exec, s[58:59]
	v_pk_add_f32 v[70:71], v[26:27], v[8:9]
	v_mov_b32_e32 v12, v53
	v_pk_add_f32 v[10:11], v[70:71], v[10:11]
	s_mov_b32 s58, s7
	v_pk_add_f32 v[10:11], v[10:11], v[46:47]
	s_mov_b32 s59, s20
	v_pk_add_f32 v[10:11], v[10:11], v[48:49]
	v_pk_add_f32 v[54:55], v[54:55], v[44:45] neg_lo:[0,1] neg_hi:[0,1]
	v_pk_add_f32 v[10:11], v[10:11], v[50:51]
	v_pk_add_f32 v[70:71], v[68:69], v[26:27]
	v_mov_b32_e32 v8, v11
	v_pk_add_f32 v[122:123], v[8:9], v[12:13]
	v_pk_mul_f32 v[10:11], v[34:35], s[58:59] op_sel_hi:[0,1]
	v_pk_mul_f32 v[98:99], v[122:123], s[30:31] op_sel:[1,0]
	s_mov_b32 s30, 0xbf7ee86f
	s_mov_b32 s31, s55
	v_pk_fma_f32 v[8:9], v[36:37], s[30:31], v[98:99] op_sel_hi:[0,1,1]
	v_pk_add_f32 v[8:9], v[26:27], v[8:9] op_sel:[1,0]
	v_pk_fma_f32 v[10:11], v[62:63], s[36:37], v[10:11] op_sel:[1,0,0]
	s_mov_b32 s36, s40
	s_mov_b32 s37, s16
	v_pk_add_f32 v[8:9], v[8:9], v[10:11]
	v_pk_mul_f32 v[10:11], v[30:31], s[36:37] op_sel_hi:[0,1]
	v_pk_fma_f32 v[10:11], v[60:61], s[38:39], v[10:11] op_sel:[1,0,0]
	s_mov_b32 s36, s53
	s_mov_b32 s37, s40
	v_pk_add_f32 v[8:9], v[8:9], v[10:11]
	v_pk_mul_f32 v[10:11], v[28:29], s[36:37] op_sel_hi:[0,1]
	;; [unrolled: 5-line block ×6, first 2 shown]
	v_pk_fma_f32 v[10:11], v[70:71], s[50:51], v[10:11] op_sel_hi:[0,1,1]
	v_pk_mul_f32 v[86:87], v[36:37], s[20:21] op_sel_hi:[0,1]
	v_pk_add_f32 v[8:9], v[8:9], v[10:11]
	v_pk_fma_f32 v[10:11], v[122:123], s[8:9], v[86:87] op_sel:[1,0,0]
	v_pk_mul_f32 v[84:85], v[34:35], s[40:41] op_sel_hi:[0,1]
	v_pk_add_f32 v[10:11], v[26:27], v[10:11] op_sel:[1,0]
	v_pk_fma_f32 v[44:45], v[62:63], s[10:11], v[84:85] op_sel:[1,0,0]
	v_pk_mul_f32 v[82:83], v[30:31], s[24:25] op_sel_hi:[0,1]
	v_pk_add_f32 v[10:11], v[10:11], v[44:45]
	v_pk_fma_f32 v[44:45], v[60:61], s[12:13], v[82:83] op_sel:[1,0,0]
	v_pk_mul_f32 v[80:81], v[28:29], s[54:55] op_sel_hi:[0,1]
	v_pk_add_f32 v[10:11], v[10:11], v[44:45]
	v_pk_fma_f32 v[44:45], v[58:59], s[14:15], v[80:81] op_sel:[1,0,0]
	v_pk_mul_f32 v[78:79], v[38:39], s[6:7] op_sel_hi:[0,1]
	v_lshlrev_b32_e32 v12, 2, v0
	v_pk_add_f32 v[10:11], v[10:11], v[44:45]
	v_pk_fma_f32 v[44:45], v[56:57], s[18:19], v[78:79] op_sel:[1,0,0]
	v_pk_mul_f32 v[76:77], v[40:41], s[26:27] op_sel_hi:[0,1]
	v_add_u32_e32 v131, 0, v12
	v_pk_add_f32 v[10:11], v[10:11], v[44:45]
	v_pk_fma_f32 v[44:45], v[66:67], s[22:23], v[76:77] op_sel:[1,0,0]
	v_pk_mul_f32 v[74:75], v[42:43], s[56:57] op_sel_hi:[0,1]
	v_add_u32_e32 v124, v131, v1
	v_pk_add_f32 v[10:11], v[10:11], v[44:45]
	v_pk_fma_f32 v[44:45], v[64:65], s[28:29], v[74:75] op_sel:[1,0,0]
	v_add3_u32 v125, 0, v1, v12
	v_add_u32_e32 v129, 0x200, v124
	v_add_u32_e32 v127, 0x400, v124
	;; [unrolled: 1-line block ×4, first 2 shown]
	v_pk_add_f32 v[10:11], v[10:11], v[44:45]
	s_waitcnt lgkmcnt(0)
	s_barrier
	ds_read_b32 v128, v125
	ds_read2_b32 v[50:51], v124 offset0:85 offset1:170
	ds_read2_b32 v[48:49], v129 offset0:127 offset1:212
	;; [unrolled: 1-line block ×5, first 2 shown]
	v_pk_mul_f32 v[72:73], v[54:55], s[2:3] op_sel_hi:[0,1]
	v_pk_fma_f32 v[88:89], v[70:71], s[34:35], v[72:73] op_sel_hi:[0,1,1]
	v_pk_add_f32 v[10:11], v[10:11], v[88:89]
	s_waitcnt lgkmcnt(0)
	s_barrier
	s_and_saveexec_b64 s[2:3], s[0:1]
	s_cbranch_execz .LBB0_14
; %bb.13:
	v_pk_mul_f32 v[104:105], v[62:63], s[10:11] op_sel:[1,0]
	v_pk_mul_f32 v[102:103], v[60:61], s[12:13] op_sel:[1,0]
	;; [unrolled: 1-line block ×5, first 2 shown]
	v_mul_f32_e32 v85, 0x3f65296c, v34
	v_mul_f32_e32 v83, 0xbf7ee86f, v30
	;; [unrolled: 1-line block ×5, first 2 shown]
	v_mov_b32_e32 v120, v63
	v_mov_b32_e32 v121, v63
	v_mov_b32_e32 v118, v61
	v_mov_b32_e32 v119, v61
	v_mov_b32_e32 v116, v59
	v_mov_b32_e32 v117, v59
	v_mov_b32_e32 v114, v57
	v_mov_b32_e32 v115, v57
	v_mov_b32_e32 v112, v67
	v_mov_b32_e32 v113, v67
	v_pk_mul_f32 v[92:93], v[64:65], s[28:29] op_sel:[1,0]
	v_mul_f32_e32 v105, 0x3ee437d1, v63
	v_fmamk_f32 v64, v63, 0x3ee437d1, v85
	s_mov_b32 s11, 0x3f6eb680
	v_mul_f32_e32 v16, 0x3f6eb680, v63
	v_mul_f32_e32 v103, 0x3dbcf732, v61
	v_fmamk_f32 v63, v61, 0x3dbcf732, v83
	v_mul_f32_e32 v20, 0xbf59a7d5, v61
	v_mul_f32_e32 v101, 0xbf1a4643, v59
	v_fmamk_f32 v61, v59, 0xbf1a4643, v81
	;; [unrolled: 3-line block ×4, first 2 shown]
	v_mul_f32_e32 v56, 0x3ee437d1, v67
	v_mov_b32_e32 v67, 0x3f6eb680
	v_mov_b32_e32 v66, v33
	;; [unrolled: 1-line block ×3, first 2 shown]
	s_mov_b32 s19, 0xbeb8f4ab
	v_pk_add_f32 v[134:135], v[122:123], v[66:67]
	v_pk_mul_f32 v[136:137], v[122:123], s[10:11]
	s_mov_b32 s18, 0xbf2c7751
	v_pk_mul_f32 v[106:107], v[122:123], s[8:9] op_sel:[1,0]
	v_mul_f32_e32 v87, 0xbf06c442, v36
	v_pk_add_f32 v[68:69], v[134:135], v[68:69]
	v_pk_fma_f32 v[134:135], v[36:37], s[18:19], v[136:137] neg_lo:[1,0,0] neg_hi:[1,0,0]
	v_mov_b32_e32 v35, v34
	v_mov_b32_e32 v132, v123
	;; [unrolled: 1-line block ×3, first 2 shown]
	s_mov_b32 s6, 0x3dbcf732
	v_mul_f32_e32 v122, 0x3f3d2fb0, v123
	v_mul_f32_e32 v107, 0xbf59a7d5, v123
	v_fmamk_f32 v33, v123, 0xbf59a7d5, v87
	v_mul_f32_e32 v66, 0xbf7ba420, v123
	s_mov_b32 s31, s18
	v_mov_b32_e32 v69, v135
	v_mov_b32_e32 v123, v137
	v_mov_b32_e32 v31, v30
	v_mov_b32_e32 v88, v27
	v_mov_b32_e32 v89, v27
	s_mov_b32 s7, 0x3f3d2fb0
	s_mov_b32 s20, 0xbf4c4adb
	v_add_f32_e32 v33, v27, v33
	v_pk_mul_f32 v[138:139], v[34:35], s[30:31]
	s_mov_b32 s21, 0xbf65296c
	v_pk_add_f32 v[26:27], v[68:69], v[26:27]
	v_pk_fma_f32 v[68:69], v[36:37], s[18:19], v[122:123]
	v_mov_b32_e32 v29, v28
	s_mov_b32 s26, 0xbe3c28d5
	s_mov_b32 s1, 0x3ee437d1
	;; [unrolled: 1-line block ×3, first 2 shown]
	v_pk_fma_f32 v[140:141], v[120:121], s[6:7], v[138:139] neg_lo:[0,0,1] neg_hi:[0,0,1]
	v_pk_fma_f32 v[138:139], v[120:121], s[6:7], v[138:139]
	v_pk_mul_f32 v[142:143], v[30:31], s[20:21]
	s_mov_b32 s27, s30
	v_pk_add_f32 v[68:69], v[88:89], v[68:69]
	v_mov_b32_e32 v39, v38
	s_mov_b32 s22, 0xbf7ba420
	s_mov_b32 s25, 0xbf763a35
	v_pk_fma_f32 v[144:145], v[118:119], s[0:1], v[142:143] neg_lo:[0,0,1] neg_hi:[0,0,1]
	v_pk_fma_f32 v[142:143], v[118:119], s[0:1], v[142:143]
	s_mov_b32 s23, s6
	v_pk_mul_f32 v[146:147], v[28:29], s[26:27]
	s_mov_b32 s24, 0x3f06c442
	v_pk_add_f32 v[68:69], v[68:69], v[138:139]
	v_mov_b32_e32 v41, v40
	v_pk_mul_f32 v[90:91], v[70:71], s[34:35] op_sel_hi:[0,1]
	s_mov_b32 s16, 0xbf59a7d5
	s_mov_b32 s17, 0xbe8c1d8e
	v_pk_fma_f32 v[148:149], v[116:117], s[22:23], v[146:147] neg_lo:[0,0,1] neg_hi:[0,0,1]
	v_pk_fma_f32 v[146:147], v[116:117], s[22:23], v[146:147]
	v_pk_mul_f32 v[150:151], v[38:39], s[24:25]
	s_mov_b32 s34, 0x3f763a35
	s_mov_b32 s35, s20
	v_pk_add_f32 v[68:69], v[68:69], v[142:143]
	v_mov_b32_e32 v43, v42
	s_mov_b32 s13, 0xbf06c442
	s_mov_b32 s12, 0x3f65296c
	v_pk_fma_f32 v[152:153], v[114:115], s[16:17], v[150:151] neg_lo:[0,0,1] neg_hi:[0,0,1]
	v_pk_fma_f32 v[150:151], v[114:115], s[16:17], v[150:151]
	s_mov_b32 s36, s17
	s_mov_b32 s37, s0
	v_pk_mul_f32 v[154:155], v[40:41], s[34:35]
	v_pk_add_f32 v[68:69], v[68:69], v[146:147]
	v_mov_b32_e32 v110, v65
	v_mov_b32_e32 v111, v65
	v_pk_fma_f32 v[156:157], v[112:113], s[36:37], v[154:155] neg_lo:[0,0,1] neg_hi:[0,0,1]
	v_pk_fma_f32 v[154:155], v[112:113], s[36:37], v[154:155]
	s_mov_b32 s36, s1
	s_mov_b32 s37, s16
	v_pk_mul_f32 v[158:159], v[42:43], s[12:13]
	v_pk_add_f32 v[68:69], v[68:69], v[150:151]
	v_mov_b32_e32 v55, v54
	s_mov_b32 s8, 0x3eb8f4ab
	v_pk_add_f32 v[68:69], v[68:69], v[154:155]
	v_pk_fma_f32 v[134:135], v[110:111], s[36:37], v[158:159]
	s_mov_b32 s9, s26
	v_mov_b32_e32 v108, v70
	v_mov_b32_e32 v109, v70
	s_mov_b32 s14, 0x3f7ee86f
	v_pk_fma_f32 v[160:161], v[110:111], s[36:37], v[158:159] neg_lo:[0,0,1] neg_hi:[0,0,1]
	v_pk_add_f32 v[68:69], v[68:69], v[134:135]
	s_mov_b32 s36, s11
	s_mov_b32 s37, s22
	v_pk_mul_f32 v[134:135], v[54:55], s[8:9]
	s_mov_b32 s15, 0x3f4c4adb
	s_mov_b32 s28, 0x3f2c7751
	v_pk_fma_f32 v[136:137], v[108:109], s[36:37], v[134:135] neg_lo:[0,0,1] neg_hi:[0,0,1]
	v_pk_fma_f32 v[134:135], v[108:109], s[36:37], v[134:135]
	v_mov_b32_e32 v123, v99
	s_mov_b32 s29, s12
	v_pk_add_f32 v[68:69], v[68:69], v[134:135]
	v_pk_fma_f32 v[122:123], v[36:37], s[28:29], v[122:123]
	s_mov_b32 s28, s6
	s_mov_b32 s29, s0
	v_pk_mul_f32 v[134:135], v[34:35], s[14:15]
	v_pk_add_f32 v[122:123], v[88:89], v[122:123]
	v_pk_fma_f32 v[134:135], v[120:121], s[28:29], v[134:135]
	s_mov_b32 s36, s15
	s_mov_b32 s37, s26
	v_pk_add_f32 v[122:123], v[122:123], v[134:135]
	s_mov_b32 s28, s0
	s_mov_b32 s29, s22
	v_pk_mul_f32 v[134:135], v[30:31], s[36:37]
	s_mov_b32 s26, 0x3e3c28d5
	v_pk_fma_f32 v[134:135], v[118:119], s[28:29], v[134:135]
	s_mov_b32 s27, s25
	v_pk_add_f32 v[122:123], v[122:123], v[134:135]
	s_mov_b32 s23, s17
	v_pk_mul_f32 v[134:135], v[28:29], s[26:27]
	s_mov_b32 s36, s13
	v_pk_fma_f32 v[134:135], v[116:117], s[22:23], v[134:135]
	s_mov_b32 s37, s18
	v_pk_add_f32 v[122:123], v[122:123], v[134:135]
	s_mov_b32 s28, s16
	s_mov_b32 s29, s7
	v_pk_mul_f32 v[134:135], v[38:39], s[36:37]
	s_mov_b32 s10, s17
	v_pk_fma_f32 v[134:135], v[114:115], s[28:29], v[134:135]
	s_mov_b32 s28, s25
	s_mov_b32 s29, s8
	v_pk_add_f32 v[122:123], v[122:123], v[134:135]
	v_pk_mul_f32 v[134:135], v[40:41], s[28:29]
	s_mov_b32 s36, s21
	v_pk_fma_f32 v[134:135], v[112:113], s[10:11], v[134:135]
	s_mov_b32 s37, s14
	v_pk_add_f32 v[122:123], v[122:123], v[134:135]
	s_mov_b32 s28, s1
	s_mov_b32 s29, s6
	v_pk_mul_f32 v[134:135], v[42:43], s[36:37]
	s_mov_b32 s36, s19
	v_pk_fma_f32 v[134:135], v[110:111], s[28:29], v[134:135]
	s_mov_b32 s37, s24
	v_pk_add_f32 v[122:123], v[122:123], v[134:135]
	s_mov_b32 s28, s11
	s_mov_b32 s29, s16
	v_pk_mul_f32 v[134:135], v[54:55], s[36:37]
	s_mov_b32 s36, s14
	s_mov_b32 s37, s34
	v_mul_f32_e32 v14, 0xbe3c28d5, v36
	v_pk_fma_f32 v[134:135], v[108:109], s[28:29], v[134:135]
	s_mov_b32 s28, s6
	s_mov_b32 s29, s17
	v_pk_mul_f32 v[36:37], v[36:37], s[36:37]
	s_mov_b32 s27, s13
	v_mul_f32_e32 v18, 0x3eb8f4ab, v34
	v_pk_fma_f32 v[36:37], v[132:133], s[28:29], v[36:37]
	s_mov_b32 s23, s16
	v_pk_mul_f32 v[34:35], v[34:35], s[26:27]
	s_mov_b32 s34, s25
	s_mov_b32 s35, s18
	v_mul_f32_e32 v22, 0xbf06c442, v30
	v_pk_add_f32 v[36:37], v[88:89], v[36:37]
	v_pk_fma_f32 v[34:35], v[120:121], s[22:23], v[34:35]
	s_mov_b32 s28, s17
	s_mov_b32 s29, s7
	v_pk_mul_f32 v[30:31], v[30:31], s[34:35]
	s_mov_b32 s34, s19
	s_mov_b32 s35, s12
	v_mul_f32_e32 v58, 0x3f2c7751, v28
	v_pk_add_f32 v[34:35], v[36:37], v[34:35]
	v_pk_fma_f32 v[30:31], v[118:119], s[28:29], v[30:31]
	s_mov_b32 s28, s11
	s_mov_b32 s29, s1
	v_pk_mul_f32 v[28:29], v[28:29], s[34:35]
	v_pk_add_f32 v[30:31], v[34:35], v[30:31]
	v_pk_fma_f32 v[28:29], v[116:117], s[28:29], v[28:29]
	s_mov_b32 s13, s26
	v_pk_add_f32 v[28:29], v[30:31], v[28:29]
	s_mov_b32 s28, s1
	s_mov_b32 s29, s22
	v_pk_mul_f32 v[30:31], v[38:39], s[12:13]
	v_add_f32_e32 v33, v33, v64
	v_pk_fma_f32 v[30:31], v[114:115], s[28:29], v[30:31]
	s_mov_b32 s25, s30
	v_add_f32_e32 v33, v33, v63
	v_pk_add_f32 v[28:29], v[28:29], v[30:31]
	s_mov_b32 s17, s6
	v_pk_mul_f32 v[30:31], v[40:41], s[24:25]
	v_add_f32_e32 v33, v33, v61
	v_pk_fma_f32 v[30:31], v[112:113], s[16:17], v[30:31]
	s_mov_b32 s21, s8
	v_mul_f32_e32 v62, 0xbf4c4adb, v38
	v_add_f32_e32 v33, v33, v59
	v_mul_f32_e32 v75, 0x3f2c7751, v42
	v_mov_b32_e32 v156, v17
	v_pk_add_f32 v[28:29], v[28:29], v[30:31]
	s_mov_b32 s1, s11
	v_pk_mul_f32 v[30:31], v[42:43], s[20:21]
	v_pk_add_f32 v[38:39], v[16:17], v[18:19] neg_lo:[0,1] neg_hi:[0,1]
	v_pk_add_f32 v[16:17], v[16:17], v[18:19]
	v_add_f32_e32 v33, v33, v57
	v_fmamk_f32 v57, v65, 0x3f3d2fb0, v75
	v_mov_b32_e32 v152, v19
	v_pk_fma_f32 v[30:31], v[110:111], s[0:1], v[30:31]
	s_mov_b32 s19, s15
	v_mov_b32_e32 v39, v16
	v_pk_add_f32 v[16:17], v[20:21], v[22:23] neg_lo:[0,1] neg_hi:[0,1]
	v_pk_add_f32 v[18:19], v[20:21], v[22:23]
	v_add_f32_e32 v33, v33, v57
	v_mov_b32_e32 v148, v21
	v_pk_add_f32 v[28:29], v[28:29], v[30:31]
	s_mov_b32 s6, s7
	s_mov_b32 s7, s0
	v_pk_mul_f32 v[30:31], v[54:55], s[18:19]
	v_mov_b32_e32 v17, v18
	v_pk_add_f32 v[18:19], v[24:25], v[58:59] neg_lo:[0,1] neg_hi:[0,1]
	v_pk_add_f32 v[20:21], v[24:25], v[58:59]
	v_mul_f32_e32 v60, 0x3f65296c, v40
	v_mov_b32_e32 v144, v23
	v_pk_fma_f32 v[30:31], v[108:109], s[6:7], v[30:31]
	v_mov_b32_e32 v19, v20
	v_pk_add_f32 v[20:21], v[32:33], v[62:63] neg_lo:[0,1] neg_hi:[0,1]
	v_pk_add_f32 v[22:23], v[32:33], v[62:63]
	v_mov_b32_e32 v140, v25
	v_pk_add_f32 v[28:29], v[28:29], v[30:31]
	v_pk_add_f32 v[30:31], v[106:107], v[86:87] neg_lo:[0,1] neg_hi:[0,1]
	v_mov_b32_e32 v21, v22
	v_pk_add_f32 v[22:23], v[56:57], v[60:61] neg_lo:[0,1] neg_hi:[0,1]
	v_pk_add_f32 v[24:25], v[56:57], v[60:61]
	v_mov_b32_e32 v160, v15
	v_pk_add_f32 v[30:31], v[88:89], v[30:31]
	v_pk_add_f32 v[34:35], v[104:105], v[84:85] neg_lo:[0,1] neg_hi:[0,1]
	v_mov_b32_e32 v23, v24
	v_pk_add_f32 v[24:25], v[66:67], v[14:15] neg_lo:[0,1] neg_hi:[0,1]
	v_pk_add_f32 v[14:15], v[66:67], v[14:15]
	v_pk_add_f32 v[30:31], v[30:31], v[34:35]
	v_pk_add_f32 v[34:35], v[102:103], v[82:83] neg_lo:[0,1] neg_hi:[0,1]
	v_mov_b32_e32 v25, v14
	v_pk_add_f32 v[30:31], v[30:31], v[34:35]
	v_pk_add_f32 v[34:35], v[100:101], v[80:81] neg_lo:[0,1] neg_hi:[0,1]
	v_pk_add_f32 v[14:15], v[88:89], v[24:25]
	v_pk_add_f32 v[30:31], v[30:31], v[34:35]
	v_pk_add_f32 v[34:35], v[96:97], v[78:79] neg_lo:[0,1] neg_hi:[0,1]
	v_pk_add_f32 v[14:15], v[14:15], v[38:39]
	v_mul_f32_e32 v93, 0x3f3d2fb0, v65
	v_pk_add_f32 v[30:31], v[30:31], v[34:35]
	v_pk_add_f32 v[34:35], v[94:95], v[76:77] neg_lo:[0,1] neg_hi:[0,1]
	v_pk_add_f32 v[14:15], v[14:15], v[16:17]
	v_mul_f32_e32 v64, 0xbe8c1d8e, v65
	v_mul_f32_e32 v98, 0xbf763a35, v42
	v_pk_add_f32 v[26:27], v[140:141], v[26:27]
	v_mul_f32_e32 v91, 0xbe8c1d8e, v70
	v_mul_f32_e32 v73, 0xbf763a35, v54
	v_pk_add_f32 v[30:31], v[30:31], v[34:35]
	v_pk_add_f32 v[34:35], v[92:93], v[74:75] neg_lo:[0,1] neg_hi:[0,1]
	v_pk_add_f32 v[14:15], v[14:15], v[18:19]
	v_pk_add_f32 v[26:27], v[144:145], v[26:27]
	;; [unrolled: 1-line block ×3, first 2 shown]
	v_pk_add_f32 v[34:35], v[90:91], v[72:73] neg_lo:[0,1] neg_hi:[0,1]
	v_pk_add_f32 v[14:15], v[14:15], v[20:21]
	v_pk_add_f32 v[16:17], v[64:65], v[98:99] neg_lo:[0,1] neg_hi:[0,1]
	v_pk_add_f32 v[18:19], v[64:65], v[98:99]
	v_pk_add_f32 v[26:27], v[148:149], v[26:27]
	;; [unrolled: 1-line block ×3, first 2 shown]
	v_mul_f32_e32 v34, 0x3dbcf732, v70
	v_mul_f32_e32 v36, 0x3f7ee86f, v54
	v_pk_add_f32 v[14:15], v[14:15], v[22:23]
	v_mov_b32_e32 v17, v18
	v_pk_add_f32 v[26:27], v[152:153], v[26:27]
	v_pk_add_f32 v[14:15], v[14:15], v[16:17]
	v_pk_add_f32 v[16:17], v[34:35], v[36:37] neg_lo:[0,1] neg_hi:[0,1]
	v_pk_add_f32 v[18:19], v[34:35], v[36:37]
	v_pk_add_f32 v[26:27], v[156:157], v[26:27]
	v_mov_b32_e32 v17, v18
	v_pk_add_f32 v[26:27], v[160:161], v[26:27]
	v_mov_b32_e32 v136, v13
	v_pk_add_f32 v[14:15], v[14:15], v[16:17]
	v_lshlrev_b32_e32 v16, 6, v0
	v_pk_add_f32 v[26:27], v[136:137], v[26:27]
	v_fmac_f32_e32 v73, 0xbe8c1d8e, v70
	v_add3_u32 v16, v131, v16, v1
	v_pk_add_f32 v[122:123], v[122:123], v[134:135]
	v_add_f32_e32 v13, v33, v73
	ds_write2_b32 v16, v26, v27 offset1:1
	ds_write2_b32 v16, v122, v123 offset0:2 offset1:3
	ds_write2_b32 v16, v28, v29 offset0:4 offset1:5
	;; [unrolled: 1-line block ×4, first 2 shown]
	ds_write_b32 v16, v13 offset:40
	ds_write2_b32 v16, v10, v11 offset0:11 offset1:12
	ds_write2_b32 v16, v8, v9 offset0:13 offset1:14
	;; [unrolled: 1-line block ×3, first 2 shown]
.LBB0_14:
	s_or_b64 exec, exec, s[2:3]
	s_movk_i32 s0, 0xf1
	v_mul_lo_u16_sdwa v13, v0, s0 dst_sel:DWORD dst_unused:UNUSED_PAD src0_sel:BYTE_0 src1_sel:DWORD
	v_lshrrev_b16_e32 v66, 12, v13
	v_mul_lo_u16_e32 v13, 17, v66
	v_sub_u16_e32 v67, v0, v13
	v_mov_b32_e32 v13, 10
	v_mul_u32_u24_sdwa v13, v67, v13 dst_sel:DWORD dst_unused:UNUSED_PAD src0_sel:BYTE_0 src1_sel:DWORD
	v_lshlrev_b32_e32 v13, 3, v13
	s_waitcnt lgkmcnt(0)
	s_barrier
	global_load_dwordx4 v[14:17], v13, s[4:5] offset:32
	global_load_dwordx3 v[54:56], v13, s[4:5] offset:48
	global_load_dwordx4 v[18:21], v13, s[4:5]
	global_load_dword v57, v13, s[4:5] offset:76
	global_load_dwordx4 v[22:25], v13, s[4:5] offset:16
	global_load_dwordx4 v[36:39], v13, s[4:5] offset:60
	ds_read_b32 v13, v125
	ds_read2_b32 v[28:29], v124 offset0:85 offset1:170
	ds_read2_b32 v[40:41], v129 offset0:127 offset1:212
	;; [unrolled: 1-line block ×5, first 2 shown]
	v_mov_b32_e32 v33, v52
	v_mov_b32_e32 v34, v47
	;; [unrolled: 1-line block ×3, first 2 shown]
	s_waitcnt lgkmcnt(1)
	v_mov_b32_e32 v32, v27
	s_waitcnt lgkmcnt(0)
	v_mov_b32_e32 v35, v30
	v_mov_b32_e32 v60, v27
	v_mov_b32_e32 v61, v30
	v_mov_b32_e32 v59, v52
	s_mov_b32 s0, 0xbe11bafb
	s_mov_b32 s10, 0x3f575c64
	;; [unrolled: 1-line block ×9, first 2 shown]
	s_barrier
	s_waitcnt vmcnt(5)
	v_mov_b32_e32 v62, v17
	s_waitcnt vmcnt(4)
	v_mov_b32_e32 v63, v54
	s_waitcnt vmcnt(3)
	v_mul_f32_e32 v27, v28, v19
	v_mul_f32_e32 v19, v50, v19
	s_waitcnt vmcnt(2)
	v_mul_f32_e32 v30, v53, v57
	v_mul_f32_e32 v47, v31, v57
	s_waitcnt vmcnt(1)
	v_mov_b32_e32 v64, v22
	v_mov_b32_e32 v65, v20
	;; [unrolled: 1-line block ×4, first 2 shown]
	s_waitcnt vmcnt(0)
	v_mov_b32_e32 v23, v38
	v_fma_f32 v52, v28, v18, -v19
	v_fma_f32 v19, v31, v39, -v30
	v_fmac_f32_e32 v27, v50, v18
	v_fmac_f32_e32 v47, v53, v39
	v_mov_b32_e32 v50, v48
	v_mov_b32_e32 v28, v40
	v_pk_mul_f32 v[22:23], v[34:35], v[22:23]
	v_sub_f32_e32 v40, v52, v19
	v_mov_b32_e32 v57, v37
	v_add_f32_e32 v39, v27, v47
	v_pk_mul_f32 v[34:35], v[28:29], v[20:21]
	v_pk_mul_f32 v[20:21], v[50:51], v[20:21]
	v_pk_fma_f32 v[30:31], v[32:33], v[36:37], v[22:23]
	v_mul_f32_e32 v37, 0xbf7d64f0, v40
	v_mul_f32_e32 v48, 0xbf4178ce, v40
	v_mul_f32_e32 v22, 0xbf0a6770, v40
	v_pk_fma_f32 v[32:33], v[50:51], v[64:65], v[34:35]
	v_pk_fma_f32 v[34:35], v[28:29], v[64:65], v[20:21] neg_lo:[0,0,1] neg_hi:[0,0,1]
	v_fmamk_f32 v28, v39, 0xbe11bafb, v37
	v_fma_f32 v29, v39, s0, -v37
	v_fmamk_f32 v37, v39, 0xbf27a4f4, v48
	v_mul_f32_e32 v23, 0xbf68dda4, v40
	v_mul_f32_e32 v40, 0xbe903f40, v40
	v_fmamk_f32 v20, v39, 0x3f575c64, v22
	v_fma_f32 v21, v39, s10, -v22
	v_add_f32_e32 v68, v128, v37
	v_mov_b32_e32 v37, v38
	v_fmamk_f32 v22, v39, 0x3ed4b147, v23
	v_fma_f32 v23, v39, s1, -v23
	v_fma_f32 v48, v39, s3, -v48
	v_fmamk_f32 v50, v39, 0xbf75a155, v40
	v_fma_f32 v39, v39, s2, -v40
	v_add_f32_e32 v40, v128, v20
	v_add_f32_e32 v51, v128, v21
	v_pk_mul_f32 v[20:21], v[58:59], v[36:37]
	v_add_f32_e32 v64, v128, v28
	v_add_f32_e32 v65, v128, v29
	v_pk_fma_f32 v[28:29], v[60:61], v[56:57], v[20:21] neg_lo:[0,0,1] neg_hi:[0,0,1]
	v_add_f32_e32 v53, v128, v22
	v_add_f32_e32 v54, v128, v23
	v_pk_add_f32 v[22:23], v[34:35], v[28:29] neg_lo:[0,1] neg_hi:[0,1]
	v_pk_add_f32 v[20:21], v[32:33], v[30:31]
	v_pk_mul_f32 v[36:37], v[22:23], s[8:9]
	v_add_f32_e32 v69, v128, v39
	v_pk_fma_f32 v[38:39], v[20:21], s[0:1], v[36:37]
	v_pk_fma_f32 v[36:37], v[20:21], s[0:1], v[36:37] neg_lo:[0,0,1] neg_hi:[0,0,1]
	v_add_f32_e32 v39, v39, v40
	v_mul_f32_e32 v40, 0xbf4178ce, v23
	v_add_f32_e32 v37, v37, v51
	v_fmamk_f32 v51, v21, 0xbf27a4f4, v40
	v_mul_f32_e32 v56, 0x3f7d64f0, v23
	v_add_f32_e32 v48, v128, v48
	v_add_f32_e32 v51, v51, v53
	v_fma_f32 v40, v21, s3, -v40
	v_mul_f32_e32 v53, 0x3e903f40, v23
	v_fmamk_f32 v57, v21, 0xbe11bafb, v56
	v_fma_f32 v56, v21, s0, -v56
	v_mul_f32_e32 v23, 0x3f0a6770, v23
	v_add_f32_e32 v40, v40, v54
	v_fmamk_f32 v54, v21, 0xbf75a155, v53
	v_fma_f32 v53, v21, s2, -v53
	v_add_f32_e32 v48, v56, v48
	v_fmamk_f32 v56, v21, 0x3f575c64, v23
	v_fma_f32 v21, v21, s10, -v23
	v_mul_f32_e32 v23, 0x3e903f40, v22
	v_add_f32_e32 v58, v36, v37
	v_fmamk_f32 v36, v20, 0xbf75a155, v23
	v_fma_f32 v23, v20, s2, -v23
	v_add_f32_e32 v59, v23, v40
	v_mul_f32_e32 v23, 0x3f68dda4, v22
	v_add_f32_e32 v53, v53, v65
	v_add_f32_e32 v51, v36, v51
	v_fmamk_f32 v36, v20, 0x3ed4b147, v23
	v_fma_f32 v23, v20, s1, -v23
	v_add_f32_e32 v54, v54, v64
	v_add_f32_e32 v53, v23, v53
	v_mul_f32_e32 v23, 0xbf0a6770, v22
	v_add_f32_e32 v60, v36, v54
	v_fmamk_f32 v36, v20, 0x3f575c64, v23
	v_fma_f32 v23, v20, s10, -v23
	v_mul_f32_e32 v22, 0xbf4178ce, v22
	v_add_f32_e32 v21, v21, v69
	v_add_f32_e32 v61, v23, v48
	v_fmamk_f32 v23, v20, 0xbf27a4f4, v22
	v_fma_f32 v20, v20, s3, -v22
	v_add_f32_e32 v64, v20, v21
	v_mov_b32_e32 v21, v24
	v_mov_b32_e32 v40, v42
	;; [unrolled: 1-line block ×3, first 2 shown]
	v_add_f32_e32 v57, v57, v68
	v_mov_b32_e32 v48, v44
	v_mov_b32_e32 v20, v14
	v_pk_mul_f32 v[14:15], v[40:41], v[24:25]
	v_add_f32_e32 v50, v128, v50
	v_add_f32_e32 v57, v36, v57
	v_pk_fma_f32 v[36:37], v[48:49], v[20:21], v[14:15]
	v_pk_mul_f32 v[14:15], v[48:49], v[24:25]
	v_add_f32_e32 v50, v56, v50
	v_add_f32_e32 v56, v38, v39
	v_pk_fma_f32 v[38:39], v[40:41], v[20:21], v[14:15] neg_lo:[0,0,1] neg_hi:[0,0,1]
	v_mov_b32_e32 v20, v45
	v_mov_b32_e32 v21, v26
	;; [unrolled: 1-line block ×3, first 2 shown]
	v_add_f32_e32 v18, v128, v27
	v_mov_b32_e32 v14, v43
	v_mov_b32_e32 v15, v46
	v_pk_mul_f32 v[20:21], v[20:21], v[54:55]
	v_add_f32_e32 v18, v18, v33
	v_pk_fma_f32 v[40:41], v[14:15], v[62:63], v[20:21]
	v_mov_b32_e32 v20, v45
	v_mov_b32_e32 v21, v46
	;; [unrolled: 1-line block ×3, first 2 shown]
	v_add_f32_e32 v18, v18, v32
	v_mov_b32_e32 v15, v26
	v_mov_b32_e32 v62, v16
	v_pk_mul_f32 v[16:17], v[20:21], v[54:55]
	v_add_f32_e32 v50, v23, v50
	v_pk_fma_f32 v[42:43], v[14:15], v[62:63], v[16:17] neg_lo:[0,0,1] neg_hi:[0,0,1]
	v_add_f32_e32 v14, v18, v37
	v_add_f32_e32 v14, v14, v36
	;; [unrolled: 1-line block ×6, first 2 shown]
	v_pk_add_f32 v[20:21], v[38:39], v[42:43] neg_lo:[0,1] neg_hi:[0,1]
	v_add_f32_e32 v18, v14, v47
	v_pk_add_f32 v[16:17], v[36:37], v[40:41]
	v_pk_mul_f32 v[14:15], v[20:21], s[6:7]
	v_mul_f32_e32 v24, 0x3f7d64f0, v21
	v_pk_fma_f32 v[22:23], v[16:17], s[2:3], v[14:15]
	v_pk_fma_f32 v[14:15], v[16:17], s[2:3], v[14:15] neg_lo:[0,0,1] neg_hi:[0,0,1]
	v_add_f32_e32 v23, v23, v56
	v_add_f32_e32 v15, v15, v58
	v_fmamk_f32 v25, v17, 0xbe11bafb, v24
	v_fma_f32 v24, v17, s0, -v24
	v_mul_f32_e32 v26, 0xbf0a6770, v21
	v_mul_f32_e32 v45, 0xbe903f40, v21
	;; [unrolled: 1-line block ×3, first 2 shown]
	v_add_f32_e32 v14, v14, v15
	v_mul_f32_e32 v15, 0x3f0a6770, v20
	v_add_f32_e32 v25, v25, v51
	v_add_f32_e32 v24, v24, v59
	v_fmamk_f32 v44, v17, 0x3f575c64, v26
	v_fma_f32 v26, v17, s10, -v26
	v_fmamk_f32 v46, v17, 0xbf75a155, v45
	v_fma_f32 v45, v17, s2, -v45
	v_fmamk_f32 v48, v17, 0x3ed4b147, v21
	v_fma_f32 v17, v17, s1, -v21
	v_add_f32_e32 v21, v22, v23
	v_fmamk_f32 v22, v16, 0x3f575c64, v15
	v_fma_f32 v15, v16, s10, -v15
	v_mul_f32_e32 v23, 0xbf4178ce, v20
	v_add_f32_e32 v44, v44, v60
	v_add_f32_e32 v26, v26, v53
	;; [unrolled: 1-line block ×4, first 2 shown]
	v_fmamk_f32 v24, v16, 0xbf27a4f4, v23
	v_fma_f32 v23, v16, s3, -v23
	v_mul_f32_e32 v25, 0x3f68dda4, v20
	v_mul_f32_e32 v20, 0xbf7d64f0, v20
	v_add_f32_e32 v17, v17, v64
	v_add_f32_e32 v24, v24, v44
	;; [unrolled: 1-line block ×3, first 2 shown]
	v_fmamk_f32 v26, v16, 0x3ed4b147, v25
	v_fma_f32 v25, v16, s1, -v25
	v_fmamk_f32 v44, v16, 0xbe11bafb, v20
	v_fma_f32 v16, v16, s0, -v20
	s_movk_i32 s0, 0x2ec
	v_mov_b32_e32 v20, 2
	v_add_f32_e32 v16, v16, v17
	v_mad_u32_u24 v17, v66, s0, 0
	v_lshlrev_b32_sdwa v20, v20, v67 dst_sel:DWORD dst_unused:UNUSED_PAD src0_sel:DWORD src1_sel:BYTE_0
	v_add_f32_e32 v46, v46, v57
	v_add_f32_e32 v45, v45, v61
	v_add_f32_e32 v48, v48, v50
	v_add3_u32 v1, v17, v20, v1
	v_add_f32_e32 v26, v26, v46
	v_add_f32_e32 v25, v25, v45
	;; [unrolled: 1-line block ×3, first 2 shown]
	ds_write2_b32 v1, v18, v21 offset1:17
	ds_write2_b32 v1, v22, v24 offset0:34 offset1:51
	ds_write2_b32 v1, v26, v44 offset0:68 offset1:85
	;; [unrolled: 1-line block ×4, first 2 shown]
	ds_write_b32 v1, v14 offset:680
	v_add_u32_e32 v15, 0x600, v124
	s_waitcnt lgkmcnt(0)
	s_barrier
	ds_read2_b32 v[16:17], v124 offset0:85 offset1:187
	ds_read2_b32 v[22:23], v127 offset0:16 offset1:118
	;; [unrolled: 1-line block ×4, first 2 shown]
	ds_read_b32 v26, v125
	ds_read_b32 v18, v124 offset:3332
	v_cmp_gt_u32_e64 s[0:1], 17, v0
	v_cmp_lt_u32_e64 s[2:3], 16, v0
	s_and_saveexec_b64 s[6:7], s[2:3]
	s_xor_b64 s[6:7], exec, s[6:7]
	s_andn2_saveexec_b64 s[6:7], s[6:7]
	s_cbranch_execz .LBB0_16
; %bb.15:
	v_add_u32_e32 v5, 0x800, v124
	v_add_u32_e32 v4, 0x200, v124
	ds_read2_b32 v[44:45], v5 offset0:32 offset1:219
	ds_read2_b32 v[14:15], v4 offset0:42 offset1:229
	ds_read_b32 v5, v124 offset:3672
	s_waitcnt lgkmcnt(2)
	v_mov_b32_e32 v4, v45
	s_waitcnt lgkmcnt(1)
	v_mov_b32_e32 v6, v15
	v_mov_b32_e32 v7, v44
.LBB0_16:
	s_or_b64 exec, exec, s[6:7]
	v_add_f32_e32 v15, v13, v52
	v_add_f32_e32 v44, v52, v19
	;; [unrolled: 1-line block ×3, first 2 shown]
	v_sub_f32_e32 v27, v27, v47
	v_mul_f32_e32 v45, 0x3f575c64, v44
	v_mul_f32_e32 v47, 0x3ed4b147, v44
	;; [unrolled: 1-line block ×5, first 2 shown]
	v_add_f32_e32 v15, v15, v34
	v_pk_add_f32 v[34:35], v[34:35], v[28:29]
	v_fmamk_f32 v46, v27, 0x3f0a6770, v45
	v_fmac_f32_e32 v45, 0xbf0a6770, v27
	v_fmamk_f32 v48, v27, 0x3f68dda4, v47
	v_fmac_f32_e32 v47, 0xbf68dda4, v27
	;; [unrolled: 2-line block ×5, first 2 shown]
	v_pk_add_f32 v[30:31], v[32:33], v[30:31] neg_lo:[0,1] neg_hi:[0,1]
	v_mul_f32_e32 v27, 0x3ed4b147, v35
	v_add_f32_e32 v45, v13, v45
	v_fmamk_f32 v32, v31, 0x3f68dda4, v27
	v_fmac_f32_e32 v27, 0xbf68dda4, v31
	v_mul_f32_e32 v33, 0xbf27a4f4, v35
	v_add_f32_e32 v46, v13, v46
	v_add_f32_e32 v48, v13, v48
	;; [unrolled: 1-line block ×10, first 2 shown]
	v_fmamk_f32 v44, v31, 0x3f4178ce, v33
	v_fmac_f32_e32 v33, 0xbf4178ce, v31
	v_mul_f32_e32 v45, 0xbf75a155, v35
	v_add_f32_e32 v32, v32, v46
	v_add_f32_e32 v33, v33, v47
	v_fmamk_f32 v46, v31, 0xbe903f40, v45
	v_fmac_f32_e32 v45, 0x3e903f40, v31
	v_mul_f32_e32 v47, 0xbe11bafb, v35
	v_mul_f32_e32 v35, 0x3f575c64, v35
	v_add_f32_e32 v44, v44, v48
	v_add_f32_e32 v45, v45, v49
	v_fmamk_f32 v48, v31, 0xbf7d64f0, v47
	v_fmac_f32_e32 v47, 0x3f7d64f0, v31
	v_fmamk_f32 v49, v31, 0xbf0a6770, v35
	v_fmac_f32_e32 v35, 0x3f0a6770, v31
	v_mul_f32_e32 v31, 0xbe11bafb, v34
	v_add_f32_e32 v13, v35, v13
	v_fmamk_f32 v35, v30, 0x3f7d64f0, v31
	v_fmac_f32_e32 v31, 0xbf7d64f0, v30
	v_add_f32_e32 v27, v31, v27
	v_mul_f32_e32 v31, 0xbf75a155, v34
	v_add_f32_e32 v35, v35, v32
	v_fmamk_f32 v32, v30, 0xbe903f40, v31
	v_fmac_f32_e32 v31, 0x3e903f40, v30
	v_add_f32_e32 v46, v46, v50
	v_add_f32_e32 v50, v31, v33
	v_mul_f32_e32 v31, 0x3ed4b147, v34
	v_add_f32_e32 v44, v32, v44
	v_fmamk_f32 v32, v30, 0xbf68dda4, v31
	v_fmac_f32_e32 v31, 0x3f68dda4, v30
	v_add_f32_e32 v15, v15, v39
	v_add_f32_e32 v45, v31, v45
	v_mul_f32_e32 v31, 0x3f575c64, v34
	v_add_f32_e32 v15, v15, v38
	v_add_f32_e32 v47, v47, v51
	;; [unrolled: 1-line block ×3, first 2 shown]
	v_fmamk_f32 v32, v30, 0x3f0a6770, v31
	v_fmac_f32_e32 v31, 0xbf0a6770, v30
	v_add_f32_e32 v15, v15, v42
	v_add_f32_e32 v48, v48, v52
	;; [unrolled: 1-line block ×3, first 2 shown]
	v_mul_f32_e32 v31, 0xbf27a4f4, v34
	v_add_f32_e32 v15, v15, v43
	v_add_f32_e32 v48, v32, v48
	v_fmamk_f32 v32, v30, 0x3f4178ce, v31
	v_fmac_f32_e32 v31, 0xbf4178ce, v30
	v_add_f32_e32 v15, v15, v28
	v_add_f32_e32 v49, v49, v53
	;; [unrolled: 1-line block ×4, first 2 shown]
	v_pk_add_f32 v[30:31], v[38:39], v[42:43]
	v_add_f32_e32 v34, v32, v49
	v_add_f32_e32 v15, v15, v19
	v_pk_add_f32 v[32:33], v[36:37], v[40:41] neg_lo:[0,1] neg_hi:[0,1]
	v_mul_f32_e32 v19, 0xbf27a4f4, v31
	v_fmamk_f32 v28, v33, 0x3f4178ce, v19
	v_fmac_f32_e32 v19, 0xbf4178ce, v33
	v_add_f32_e32 v28, v28, v35
	v_add_f32_e32 v19, v19, v27
	v_mul_f32_e32 v27, 0xbe11bafb, v31
	v_mul_f32_e32 v35, 0x3f575c64, v31
	;; [unrolled: 1-line block ×4, first 2 shown]
	v_fmamk_f32 v39, v33, 0xbf68dda4, v31
	v_fmac_f32_e32 v31, 0x3f68dda4, v33
	v_add_f32_e32 v13, v31, v13
	v_mul_f32_e32 v31, 0xbf75a155, v30
	v_fmamk_f32 v29, v33, 0xbf7d64f0, v27
	v_fmac_f32_e32 v27, 0x3f7d64f0, v33
	v_fmamk_f32 v36, v33, 0x3f0a6770, v35
	v_fmac_f32_e32 v35, 0xbf0a6770, v33
	;; [unrolled: 2-line block ×4, first 2 shown]
	v_add_f32_e32 v33, v33, v28
	v_add_f32_e32 v28, v31, v19
	v_mul_f32_e32 v19, 0x3f575c64, v30
	v_add_f32_e32 v27, v27, v50
	v_fmamk_f32 v31, v32, 0xbf0a6770, v19
	v_fmac_f32_e32 v19, 0x3f0a6770, v32
	v_add_f32_e32 v29, v29, v44
	v_add_f32_e32 v19, v19, v27
	v_mul_f32_e32 v27, 0xbf27a4f4, v30
	v_add_f32_e32 v35, v35, v45
	v_add_f32_e32 v29, v31, v29
	v_fmamk_f32 v31, v32, 0x3f4178ce, v27
	v_fmac_f32_e32 v27, 0xbf4178ce, v32
	v_add_f32_e32 v36, v36, v46
	v_add_f32_e32 v27, v27, v35
	v_mul_f32_e32 v35, 0x3ed4b147, v30
	v_add_f32_e32 v37, v37, v47
	v_add_f32_e32 v31, v31, v36
	v_fmamk_f32 v36, v32, 0xbf68dda4, v35
	v_fmac_f32_e32 v35, 0x3f68dda4, v32
	v_mul_f32_e32 v30, 0xbe11bafb, v30
	v_add_f32_e32 v38, v38, v48
	v_add_f32_e32 v34, v39, v34
	;; [unrolled: 1-line block ×3, first 2 shown]
	v_fmamk_f32 v37, v32, 0x3f7d64f0, v30
	v_fmac_f32_e32 v30, 0xbf7d64f0, v32
	v_add_f32_e32 v36, v36, v38
	v_add_f32_e32 v34, v37, v34
	;; [unrolled: 1-line block ×3, first 2 shown]
	s_waitcnt lgkmcnt(0)
	s_barrier
	ds_write2_b32 v1, v15, v33 offset1:17
	ds_write2_b32 v1, v29, v31 offset0:34 offset1:51
	ds_write2_b32 v1, v36, v34 offset0:68 offset1:85
	;; [unrolled: 1-line block ×4, first 2 shown]
	ds_write_b32 v1, v28 offset:680
	v_add_u32_e32 v1, 0x400, v124
	s_waitcnt lgkmcnt(0)
	s_barrier
	ds_read2_b32 v[36:37], v1 offset0:16 offset1:118
	v_add_u32_e32 v1, 0x600, v124
	ds_read2_b32 v[40:41], v1 offset0:75 offset1:177
	v_add_u32_e32 v1, 0x800, v124
	ds_read2_b32 v[32:33], v124 offset0:85 offset1:187
	ds_read2_b32 v[38:39], v1 offset0:134 offset1:236
	ds_read_b32 v27, v125
	ds_read_b32 v34, v124 offset:3332
	s_and_saveexec_b64 s[6:7], s[2:3]
	s_xor_b64 s[2:3], exec, s[6:7]
	s_cbranch_execnz .LBB0_20
; %bb.17:
	s_andn2_saveexec_b64 s[2:3], s[2:3]
	s_cbranch_execnz .LBB0_21
.LBB0_18:
	s_or_b64 exec, exec, s[2:3]
	s_and_saveexec_b64 s[2:3], vcc
	s_cbranch_execnz .LBB0_22
.LBB0_19:
	s_endpgm
.LBB0_20:
                                        ; implicit-def: $vgpr124
	s_andn2_saveexec_b64 s[2:3], s[2:3]
	s_cbranch_execz .LBB0_18
.LBB0_21:
	v_add_u32_e32 v8, 0x800, v124
	v_add_u32_e32 v1, 0x200, v124
	ds_read2_b32 v[30:31], v8 offset0:32 offset1:219
	ds_read2_b32 v[28:29], v1 offset0:42 offset1:229
	ds_read_b32 v9, v124 offset:3672
	s_waitcnt lgkmcnt(2)
	v_mov_b32_e32 v8, v31
	s_waitcnt lgkmcnt(1)
	v_mov_b32_e32 v10, v29
	v_mov_b32_e32 v11, v30
	s_or_b64 exec, exec, s[2:3]
	s_and_saveexec_b64 s[2:3], vcc
	s_cbranch_execz .LBB0_19
.LBB0_22:
	v_mov_b32_e32 v31, 0
	v_mov_b32_e32 v13, v31
	v_lshl_add_u64 v[12:13], v[12:13], 3, s[4:5]
	global_load_dwordx4 v[42:45], v[12:13], off offset:1360
	global_load_dwordx4 v[46:49], v[12:13], off offset:1376
	v_add_u32_e32 v15, 0x55, v0
	v_lshlrev_b32_e32 v30, 2, v15
	v_lshl_add_u64 v[12:13], v[30:31], 3, s[4:5]
	global_load_dwordx4 v[50:53], v[12:13], off offset:1376
	global_load_dwordx4 v[54:57], v[12:13], off offset:1360
	s_waitcnt lgkmcnt(3)
	v_mov_b32_e32 v58, v33
	v_mov_b32_e32 v64, v37
	s_waitcnt lgkmcnt(2)
	v_mov_b32_e32 v70, v39
	v_mov_b32_e32 v74, v41
	;; [unrolled: 1-line block ×10, first 2 shown]
	s_mov_b32 s6, 0x3f737871
	s_mov_b32 s7, 0xaf3addc7
	;; [unrolled: 1-line block ×3, first 2 shown]
	v_mov_b32_e32 v1, v31
	v_lshl_add_u64 v[12:13], v[0:1], 3, v[2:3]
	s_mov_b32 s2, 0x3e9e377a
	s_movk_i32 s3, 0x1000
	v_add_co_u32_e32 v80, vcc, s3, v12
	v_mov_b32_e32 v17, v32
	s_nop 0
	v_addc_co_u32_e32 v81, vcc, 0, v13, vcc
	v_mul_hi_u32 v15, v15, s7
	v_lshrrev_b32_e32 v1, 7, v15
	s_waitcnt vmcnt(3)
	v_pk_mul_f32 v[58:59], v[58:59], v[42:43] op_sel_hi:[0,1]
	v_pk_mul_f32 v[64:65], v[64:65], v[44:45] op_sel_hi:[0,1]
	s_waitcnt vmcnt(2)
	v_pk_mul_f32 v[70:71], v[70:71], v[48:49] op_sel_hi:[0,1]
	v_pk_mul_f32 v[74:75], v[74:75], v[46:47] op_sel_hi:[0,1]
	v_pk_fma_f32 v[60:61], v[60:61], v[42:43], v[58:59] op_sel:[0,0,1] op_sel_hi:[1,1,0]
	v_pk_fma_f32 v[42:43], v[62:63], v[42:43], v[58:59] op_sel:[0,0,1] op_sel_hi:[0,1,0] neg_lo:[1,0,0] neg_hi:[1,0,0]
	v_pk_fma_f32 v[58:59], v[66:67], v[44:45], v[64:65] op_sel:[0,0,1] op_sel_hi:[1,1,0]
	v_pk_fma_f32 v[44:45], v[68:69], v[44:45], v[64:65] op_sel:[0,0,1] op_sel_hi:[0,1,0] neg_lo:[1,0,0] neg_hi:[1,0,0]
	;; [unrolled: 2-line block ×4, first 2 shown]
	v_mov_b32_e32 v61, v43
	v_mov_b32_e32 v59, v45
	;; [unrolled: 1-line block ×4, first 2 shown]
	s_waitcnt lgkmcnt(1)
	v_pk_add_f32 v[42:43], v[26:27], v[60:61]
	v_pk_add_f32 v[44:45], v[58:59], v[64:65]
	v_pk_add_f32 v[46:47], v[60:61], v[62:63] neg_lo:[0,1] neg_hi:[0,1]
	v_pk_add_f32 v[48:49], v[58:59], v[64:65] neg_lo:[0,1] neg_hi:[0,1]
	;; [unrolled: 1-line block ×4, first 2 shown]
	v_pk_add_f32 v[60:61], v[60:61], v[62:63]
	v_pk_add_f32 v[42:43], v[42:43], v[58:59]
	v_pk_fma_f32 v[44:45], v[44:45], 0.5, v[26:27] op_sel_hi:[1,0,1] neg_lo:[1,0,0] neg_hi:[1,0,0]
	v_pk_mul_f32 v[58:59], v[46:47], s[6:7] op_sel_hi:[1,0]
	v_pk_mul_f32 v[74:75], v[48:49], s[8:9] op_sel_hi:[1,0]
	v_pk_fma_f32 v[26:27], v[60:61], 0.5, v[26:27] op_sel_hi:[1,0,1] neg_lo:[1,0,0] neg_hi:[1,0,0]
	v_pk_mul_f32 v[48:49], v[48:49], s[6:7] op_sel_hi:[1,0]
	v_pk_add_f32 v[42:43], v[42:43], v[64:65]
	v_pk_add_f32 v[60:61], v[44:45], v[58:59] op_sel:[0,1] op_sel_hi:[1,0] neg_lo:[0,1] neg_hi:[0,1]
	v_pk_add_f32 v[44:45], v[44:45], v[58:59] op_sel:[0,1] op_sel_hi:[1,0]
	v_pk_add_f32 v[68:69], v[62:63], v[64:65] neg_lo:[0,1] neg_hi:[0,1]
	v_pk_mul_f32 v[46:47], v[46:47], s[8:9] op_sel_hi:[1,0]
	v_pk_add_f32 v[58:59], v[26:27], v[48:49] op_sel:[0,1] op_sel_hi:[1,0]
	v_pk_add_f32 v[26:27], v[26:27], v[48:49] op_sel:[0,1] op_sel_hi:[1,0] neg_lo:[0,1] neg_hi:[0,1]
	v_pk_add_f32 v[42:43], v[62:63], v[42:43]
	v_pk_add_f32 v[44:45], v[44:45], v[74:75] op_sel:[0,1] op_sel_hi:[1,0]
	v_pk_add_f32 v[48:49], v[60:61], v[74:75] op_sel:[0,1] op_sel_hi:[1,0] neg_lo:[0,1] neg_hi:[0,1]
	v_pk_add_f32 v[72:73], v[64:65], v[62:63] neg_lo:[0,1] neg_hi:[0,1]
	v_pk_add_f32 v[66:67], v[66:67], v[68:69]
	v_pk_add_f32 v[26:27], v[26:27], v[46:47] op_sel:[0,1] op_sel_hi:[1,0]
	v_pk_add_f32 v[46:47], v[58:59], v[46:47] op_sel:[0,1] op_sel_hi:[1,0] neg_lo:[0,1] neg_hi:[0,1]
	global_store_dwordx2 v[12:13], v[42:43], off
	v_mov_b32_e32 v42, v48
	v_mov_b32_e32 v43, v45
	v_pk_add_f32 v[68:69], v[70:71], v[72:73]
	v_mov_b32_e32 v58, v46
	v_mov_b32_e32 v59, v27
	;; [unrolled: 1-line block ×4, first 2 shown]
	v_pk_fma_f32 v[42:43], v[66:67], s[2:3], v[42:43] op_sel_hi:[1,0,1]
	s_waitcnt vmcnt(1)
	v_pk_mul_f32 v[40:41], v[40:41], v[56:57] op_sel_hi:[0,1]
	v_pk_fma_f32 v[46:47], v[68:69], s[2:3], v[58:59] op_sel_hi:[1,0,1]
	v_pk_fma_f32 v[26:27], v[68:69], s[2:3], v[26:27] op_sel_hi:[1,0,1]
	;; [unrolled: 1-line block ×3, first 2 shown]
	global_store_dwordx2 v[12:13], v[42:43], off offset:1496
	global_store_dwordx2 v[12:13], v[46:47], off offset:2992
	;; [unrolled: 1-line block ×4, first 2 shown]
	v_pk_fma_f32 v[42:43], v[24:25], v[56:57], v[40:41] op_sel:[0,0,1] op_sel_hi:[1,1,0]
	v_pk_fma_f32 v[24:25], v[24:25], v[56:57], v[40:41] op_sel:[0,0,1] op_sel_hi:[0,1,0] neg_lo:[1,0,0] neg_hi:[1,0,0]
	v_mov_b32_e32 v43, v25
	v_pk_mul_f32 v[24:25], v[36:37], v[54:55] op_sel_hi:[0,1]
	v_pk_fma_f32 v[36:37], v[22:23], v[54:55], v[24:25] op_sel:[0,0,1] op_sel_hi:[1,1,0]
	v_pk_fma_f32 v[22:23], v[22:23], v[54:55], v[24:25] op_sel:[0,0,1] op_sel_hi:[0,1,0] neg_lo:[1,0,0] neg_hi:[1,0,0]
	v_mov_b32_e32 v37, v23
	v_pk_mul_f32 v[22:23], v[38:39], v[50:51] op_sel_hi:[0,1]
	v_pk_fma_f32 v[24:25], v[20:21], v[50:51], v[22:23] op_sel:[0,0,1] op_sel_hi:[1,1,0]
	v_pk_fma_f32 v[20:21], v[20:21], v[50:51], v[22:23] op_sel:[0,0,1] op_sel_hi:[0,1,0] neg_lo:[1,0,0] neg_hi:[1,0,0]
	v_mov_b32_e32 v25, v21
	s_waitcnt lgkmcnt(0)
	v_pk_mul_f32 v[20:21], v[34:35], v[52:53] op_sel_hi:[0,1]
	v_pk_fma_f32 v[22:23], v[18:19], v[52:53], v[20:21] op_sel:[0,0,1] op_sel_hi:[1,1,0]
	v_pk_fma_f32 v[18:19], v[18:19], v[52:53], v[20:21] op_sel:[0,0,1] op_sel_hi:[0,1,0] neg_lo:[1,0,0] neg_hi:[1,0,0]
	v_mov_b32_e32 v23, v19
	v_pk_add_f32 v[18:19], v[16:17], v[36:37]
	v_mul_u32_u24_e32 v30, 0x2ec, v1
	v_pk_add_f32 v[18:19], v[42:43], v[18:19]
	v_pk_add_f32 v[32:33], v[36:37], v[42:43] neg_lo:[0,1] neg_hi:[0,1]
	v_pk_add_f32 v[18:19], v[18:19], v[24:25]
	v_pk_add_f32 v[34:35], v[22:23], v[24:25] neg_lo:[0,1] neg_hi:[0,1]
	v_lshl_add_u64 v[26:27], v[30:31], 3, v[12:13]
	v_pk_add_f32 v[18:19], v[18:19], v[22:23]
	v_pk_add_f32 v[20:21], v[36:37], v[22:23] neg_lo:[0,1] neg_hi:[0,1]
	v_pk_add_f32 v[32:33], v[32:33], v[34:35]
	v_pk_add_f32 v[34:35], v[42:43], v[24:25]
	global_store_dwordx2 v[26:27], v[18:19], off offset:680
	v_pk_add_f32 v[18:19], v[42:43], v[24:25] neg_lo:[0,1] neg_hi:[0,1]
	v_pk_fma_f32 v[34:35], v[34:35], 0.5, v[16:17] op_sel_hi:[1,0,1] neg_lo:[1,0,0] neg_hi:[1,0,0]
	v_pk_mul_f32 v[38:39], v[20:21], s[6:7] op_sel_hi:[1,0]
	v_pk_add_f32 v[24:25], v[24:25], v[22:23] neg_lo:[0,1] neg_hi:[0,1]
	v_pk_add_f32 v[40:41], v[34:35], v[38:39] op_sel:[0,1] op_sel_hi:[1,0] neg_lo:[0,1] neg_hi:[0,1]
	v_pk_add_f32 v[34:35], v[34:35], v[38:39] op_sel:[0,1] op_sel_hi:[1,0]
	v_pk_mul_f32 v[38:39], v[18:19], s[8:9] op_sel_hi:[1,0]
	v_pk_add_f32 v[22:23], v[36:37], v[22:23]
	v_pk_add_f32 v[34:35], v[34:35], v[38:39] op_sel:[0,1] op_sel_hi:[1,0]
	v_pk_add_f32 v[38:39], v[40:41], v[38:39] op_sel:[0,1] op_sel_hi:[1,0] neg_lo:[0,1] neg_hi:[0,1]
	v_mov_b32_e32 v41, v35
	v_mov_b32_e32 v40, v38
	v_pk_fma_f32 v[16:17], v[22:23], 0.5, v[16:17] op_sel_hi:[1,0,1] neg_lo:[1,0,0] neg_hi:[1,0,0]
	v_pk_mul_f32 v[18:19], v[18:19], s[6:7] op_sel_hi:[1,0]
	v_pk_fma_f32 v[40:41], v[32:33], s[2:3], v[40:41] op_sel_hi:[1,0,1]
	v_pk_mul_f32 v[20:21], v[20:21], s[8:9] op_sel_hi:[1,0]
	v_pk_add_f32 v[22:23], v[16:17], v[18:19] op_sel:[0,1] op_sel_hi:[1,0]
	v_pk_add_f32 v[16:17], v[16:17], v[18:19] op_sel:[0,1] op_sel_hi:[1,0] neg_lo:[0,1] neg_hi:[0,1]
	global_store_dwordx2 v[26:27], v[40:41], off offset:2176
	v_pk_add_f32 v[40:41], v[42:43], v[36:37] neg_lo:[0,1] neg_hi:[0,1]
	v_pk_add_f32 v[16:17], v[16:17], v[20:21] op_sel:[0,1] op_sel_hi:[1,0]
	v_pk_add_f32 v[18:19], v[22:23], v[20:21] op_sel:[0,1] op_sel_hi:[1,0] neg_lo:[0,1] neg_hi:[0,1]
	v_pk_add_f32 v[24:25], v[40:41], v[24:25]
	v_mov_b32_e32 v20, v18
	v_mov_b32_e32 v21, v17
	;; [unrolled: 1-line block ×3, first 2 shown]
	v_add_co_u32_e32 v18, vcc, 0x1000, v26
	v_pk_fma_f32 v[16:17], v[24:25], s[2:3], v[16:17] op_sel_hi:[1,0,1]
	s_nop 0
	v_addc_co_u32_e32 v19, vcc, 0, v27, vcc
	v_mov_b32_e32 v35, v39
	v_pk_fma_f32 v[20:21], v[24:25], s[2:3], v[20:21] op_sel_hi:[1,0,1]
	global_store_dwordx2 v[18:19], v[16:17], off offset:1072
	v_pk_fma_f32 v[16:17], v[32:33], s[2:3], v[34:35] op_sel_hi:[1,0,1]
	global_store_dwordx2 v[26:27], v[20:21], off offset:3672
	global_store_dwordx2 v[18:19], v[16:17], off offset:2568
	s_and_b64 exec, exec, s[0:1]
	s_cbranch_execz .LBB0_19
; %bb.23:
	v_not_b32_e32 v1, 16
	v_mov_b32_e32 v15, 0xaa
	v_cndmask_b32_e64 v1, v1, v15, s[0:1]
	v_add_lshl_u32 v30, v0, v1, 2
	v_lshl_add_u64 v[24:25], v[30:31], 3, s[4:5]
	global_load_dwordx4 v[16:19], v[24:25], off offset:1360
	global_load_dwordx4 v[20:23], v[24:25], off offset:1376
	v_or_b32_e32 v30, 0x220, v0
	v_lshl_add_u64 v[0:1], v[30:31], 3, v[2:3]
	v_mov_b32_e32 v15, v28
	v_add_co_u32_e32 v24, vcc, 0x1000, v12
	s_waitcnt vmcnt(1)
	v_pk_mul_f32 v[2:3], v[10:11], v[16:17] op_sel_hi:[0,1]
	v_pk_mul_f32 v[10:11], v[10:11], v[18:19] op_sel:[1,0]
	s_waitcnt vmcnt(0)
	v_pk_mul_f32 v[26:27], v[8:9], v[20:21] op_sel_hi:[0,1]
	v_pk_mul_f32 v[8:9], v[8:9], v[22:23] op_sel:[1,0]
	v_pk_fma_f32 v[28:29], v[6:7], v[16:17], v[2:3] op_sel:[0,0,1] op_sel_hi:[1,1,0]
	v_pk_fma_f32 v[2:3], v[6:7], v[16:17], v[2:3] op_sel:[0,0,1] op_sel_hi:[0,1,0] neg_lo:[1,0,0] neg_hi:[1,0,0]
	v_pk_fma_f32 v[16:17], v[6:7], v[18:19], v[10:11] op_sel:[1,0,1] op_sel_hi:[1,1,0]
	v_pk_fma_f32 v[6:7], v[6:7], v[18:19], v[10:11] op_sel:[1,0,1] op_sel_hi:[1,1,0] neg_lo:[1,0,0] neg_hi:[1,0,0]
	;; [unrolled: 2-line block ×4, first 2 shown]
	v_mov_b32_e32 v29, v3
	v_mov_b32_e32 v17, v7
	;; [unrolled: 1-line block ×4, first 2 shown]
	v_pk_add_f32 v[2:3], v[14:15], v[28:29]
	v_pk_add_f32 v[4:5], v[16:17], v[10:11]
	v_pk_add_f32 v[6:7], v[28:29], v[20:21] neg_lo:[0,1] neg_hi:[0,1]
	v_pk_add_f32 v[8:9], v[16:17], v[10:11] neg_lo:[0,1] neg_hi:[0,1]
	;; [unrolled: 1-line block ×3, first 2 shown]
	v_pk_add_f32 v[26:27], v[28:29], v[20:21]
	v_pk_add_f32 v[28:29], v[16:17], v[28:29] neg_lo:[0,1] neg_hi:[0,1]
	v_pk_add_f32 v[2:3], v[2:3], v[16:17]
	v_pk_fma_f32 v[4:5], v[4:5], 0.5, v[14:15] op_sel_hi:[1,0,1] neg_lo:[1,0,0] neg_hi:[1,0,0]
	v_pk_mul_f32 v[16:17], v[6:7], s[6:7] op_sel_hi:[1,0]
	v_pk_add_f32 v[22:23], v[20:21], v[10:11] neg_lo:[0,1] neg_hi:[0,1]
	v_pk_add_f32 v[30:31], v[10:11], v[20:21] neg_lo:[0,1] neg_hi:[0,1]
	v_pk_mul_f32 v[32:33], v[8:9], s[8:9] op_sel_hi:[1,0]
	v_pk_fma_f32 v[14:15], v[26:27], 0.5, v[14:15] op_sel_hi:[1,0,1] neg_lo:[1,0,0] neg_hi:[1,0,0]
	v_pk_mul_f32 v[8:9], v[8:9], s[6:7] op_sel_hi:[1,0]
	v_pk_add_f32 v[2:3], v[2:3], v[10:11]
	v_pk_add_f32 v[10:11], v[4:5], v[16:17] op_sel:[0,1] op_sel_hi:[1,0] neg_lo:[0,1] neg_hi:[0,1]
	v_pk_add_f32 v[4:5], v[4:5], v[16:17] op_sel:[0,1] op_sel_hi:[1,0]
	v_pk_mul_f32 v[6:7], v[6:7], s[8:9] op_sel_hi:[1,0]
	v_pk_add_f32 v[16:17], v[14:15], v[8:9] op_sel:[0,1] op_sel_hi:[1,0] neg_lo:[0,1] neg_hi:[0,1]
	v_pk_add_f32 v[8:9], v[14:15], v[8:9] op_sel:[0,1] op_sel_hi:[1,0]
	v_pk_add_f32 v[4:5], v[4:5], v[32:33] op_sel:[0,1] op_sel_hi:[1,0]
	v_pk_add_f32 v[10:11], v[10:11], v[32:33] op_sel:[0,1] op_sel_hi:[1,0] neg_lo:[0,1] neg_hi:[0,1]
	v_pk_add_f32 v[18:19], v[18:19], v[22:23]
	v_pk_add_f32 v[2:3], v[2:3], v[20:21]
	v_pk_add_f32 v[8:9], v[8:9], v[6:7] op_sel:[0,1] op_sel_hi:[1,0] neg_lo:[0,1] neg_hi:[0,1]
	v_pk_add_f32 v[6:7], v[16:17], v[6:7] op_sel:[0,1] op_sel_hi:[1,0]
	v_mov_b32_e32 v14, v10
	v_mov_b32_e32 v15, v5
	v_pk_add_f32 v[22:23], v[28:29], v[30:31]
	v_mov_b32_e32 v5, v11
	v_mov_b32_e32 v10, v6
	;; [unrolled: 1-line block ×4, first 2 shown]
	global_store_dwordx2 v[12:13], v[2:3], off offset:1360
	v_pk_fma_f32 v[2:3], v[18:19], s[2:3], v[14:15] op_sel_hi:[1,0,1]
	v_addc_co_u32_e32 v25, vcc, 0, v13, vcc
	v_pk_fma_f32 v[4:5], v[18:19], s[2:3], v[4:5] op_sel_hi:[1,0,1]
	v_pk_fma_f32 v[6:7], v[22:23], s[2:3], v[8:9] op_sel_hi:[1,0,1]
	;; [unrolled: 1-line block ×3, first 2 shown]
	global_store_dwordx2 v[12:13], v[2:3], off offset:2856
	global_store_dwordx2 v[0:1], v[6:7], off
	global_store_dwordx2 v[24:25], v[8:9], off offset:1752
	global_store_dwordx2 v[24:25], v[4:5], off offset:3248
	s_endpgm
	.section	.rodata,"a",@progbits
	.p2align	6, 0x0
	.amdhsa_kernel fft_rtc_back_len935_factors_17_11_5_wgs_255_tpt_85_halfLds_sp_ip_CI_unitstride_sbrr_dirReg
		.amdhsa_group_segment_fixed_size 0
		.amdhsa_private_segment_fixed_size 0
		.amdhsa_kernarg_size 88
		.amdhsa_user_sgpr_count 2
		.amdhsa_user_sgpr_dispatch_ptr 0
		.amdhsa_user_sgpr_queue_ptr 0
		.amdhsa_user_sgpr_kernarg_segment_ptr 1
		.amdhsa_user_sgpr_dispatch_id 0
		.amdhsa_user_sgpr_kernarg_preload_length 0
		.amdhsa_user_sgpr_kernarg_preload_offset 0
		.amdhsa_user_sgpr_private_segment_size 0
		.amdhsa_uses_dynamic_stack 0
		.amdhsa_enable_private_segment 0
		.amdhsa_system_sgpr_workgroup_id_x 1
		.amdhsa_system_sgpr_workgroup_id_y 0
		.amdhsa_system_sgpr_workgroup_id_z 0
		.amdhsa_system_sgpr_workgroup_info 0
		.amdhsa_system_vgpr_workitem_id 0
		.amdhsa_next_free_vgpr 162
		.amdhsa_next_free_sgpr 82
		.amdhsa_accum_offset 164
		.amdhsa_reserve_vcc 1
		.amdhsa_float_round_mode_32 0
		.amdhsa_float_round_mode_16_64 0
		.amdhsa_float_denorm_mode_32 3
		.amdhsa_float_denorm_mode_16_64 3
		.amdhsa_dx10_clamp 1
		.amdhsa_ieee_mode 1
		.amdhsa_fp16_overflow 0
		.amdhsa_tg_split 0
		.amdhsa_exception_fp_ieee_invalid_op 0
		.amdhsa_exception_fp_denorm_src 0
		.amdhsa_exception_fp_ieee_div_zero 0
		.amdhsa_exception_fp_ieee_overflow 0
		.amdhsa_exception_fp_ieee_underflow 0
		.amdhsa_exception_fp_ieee_inexact 0
		.amdhsa_exception_int_div_zero 0
	.end_amdhsa_kernel
	.text
.Lfunc_end0:
	.size	fft_rtc_back_len935_factors_17_11_5_wgs_255_tpt_85_halfLds_sp_ip_CI_unitstride_sbrr_dirReg, .Lfunc_end0-fft_rtc_back_len935_factors_17_11_5_wgs_255_tpt_85_halfLds_sp_ip_CI_unitstride_sbrr_dirReg
                                        ; -- End function
	.section	.AMDGPU.csdata,"",@progbits
; Kernel info:
; codeLenInByte = 11724
; NumSgprs: 88
; NumVgprs: 162
; NumAgprs: 0
; TotalNumVgprs: 162
; ScratchSize: 0
; MemoryBound: 0
; FloatMode: 240
; IeeeMode: 1
; LDSByteSize: 0 bytes/workgroup (compile time only)
; SGPRBlocks: 10
; VGPRBlocks: 20
; NumSGPRsForWavesPerEU: 88
; NumVGPRsForWavesPerEU: 162
; AccumOffset: 164
; Occupancy: 3
; WaveLimiterHint : 1
; COMPUTE_PGM_RSRC2:SCRATCH_EN: 0
; COMPUTE_PGM_RSRC2:USER_SGPR: 2
; COMPUTE_PGM_RSRC2:TRAP_HANDLER: 0
; COMPUTE_PGM_RSRC2:TGID_X_EN: 1
; COMPUTE_PGM_RSRC2:TGID_Y_EN: 0
; COMPUTE_PGM_RSRC2:TGID_Z_EN: 0
; COMPUTE_PGM_RSRC2:TIDIG_COMP_CNT: 0
; COMPUTE_PGM_RSRC3_GFX90A:ACCUM_OFFSET: 40
; COMPUTE_PGM_RSRC3_GFX90A:TG_SPLIT: 0
	.text
	.p2alignl 6, 3212836864
	.fill 256, 4, 3212836864
	.type	__hip_cuid_e17bdfecd4d6ae3c,@object ; @__hip_cuid_e17bdfecd4d6ae3c
	.section	.bss,"aw",@nobits
	.globl	__hip_cuid_e17bdfecd4d6ae3c
__hip_cuid_e17bdfecd4d6ae3c:
	.byte	0                               ; 0x0
	.size	__hip_cuid_e17bdfecd4d6ae3c, 1

	.ident	"AMD clang version 19.0.0git (https://github.com/RadeonOpenCompute/llvm-project roc-6.4.0 25133 c7fe45cf4b819c5991fe208aaa96edf142730f1d)"
	.section	".note.GNU-stack","",@progbits
	.addrsig
	.addrsig_sym __hip_cuid_e17bdfecd4d6ae3c
	.amdgpu_metadata
---
amdhsa.kernels:
  - .agpr_count:     0
    .args:
      - .actual_access:  read_only
        .address_space:  global
        .offset:         0
        .size:           8
        .value_kind:     global_buffer
      - .offset:         8
        .size:           8
        .value_kind:     by_value
      - .actual_access:  read_only
        .address_space:  global
        .offset:         16
        .size:           8
        .value_kind:     global_buffer
      - .actual_access:  read_only
        .address_space:  global
        .offset:         24
        .size:           8
        .value_kind:     global_buffer
      - .offset:         32
        .size:           8
        .value_kind:     by_value
      - .actual_access:  read_only
        .address_space:  global
        .offset:         40
        .size:           8
        .value_kind:     global_buffer
      - .actual_access:  read_only
        .address_space:  global
        .offset:         48
        .size:           8
        .value_kind:     global_buffer
      - .offset:         56
        .size:           4
        .value_kind:     by_value
      - .actual_access:  read_only
        .address_space:  global
        .offset:         64
        .size:           8
        .value_kind:     global_buffer
      - .actual_access:  read_only
        .address_space:  global
        .offset:         72
        .size:           8
        .value_kind:     global_buffer
      - .address_space:  global
        .offset:         80
        .size:           8
        .value_kind:     global_buffer
    .group_segment_fixed_size: 0
    .kernarg_segment_align: 8
    .kernarg_segment_size: 88
    .language:       OpenCL C
    .language_version:
      - 2
      - 0
    .max_flat_workgroup_size: 255
    .name:           fft_rtc_back_len935_factors_17_11_5_wgs_255_tpt_85_halfLds_sp_ip_CI_unitstride_sbrr_dirReg
    .private_segment_fixed_size: 0
    .sgpr_count:     88
    .sgpr_spill_count: 0
    .symbol:         fft_rtc_back_len935_factors_17_11_5_wgs_255_tpt_85_halfLds_sp_ip_CI_unitstride_sbrr_dirReg.kd
    .uniform_work_group_size: 1
    .uses_dynamic_stack: false
    .vgpr_count:     162
    .vgpr_spill_count: 0
    .wavefront_size: 64
amdhsa.target:   amdgcn-amd-amdhsa--gfx950
amdhsa.version:
  - 1
  - 2
...

	.end_amdgpu_metadata
